;; amdgpu-corpus repo=ROCm/rocFFT kind=compiled arch=gfx950 opt=O3
	.text
	.amdgcn_target "amdgcn-amd-amdhsa--gfx950"
	.amdhsa_code_object_version 6
	.protected	bluestein_single_back_len1092_dim1_sp_op_CI_CI ; -- Begin function bluestein_single_back_len1092_dim1_sp_op_CI_CI
	.globl	bluestein_single_back_len1092_dim1_sp_op_CI_CI
	.p2align	8
	.type	bluestein_single_back_len1092_dim1_sp_op_CI_CI,@function
bluestein_single_back_len1092_dim1_sp_op_CI_CI: ; @bluestein_single_back_len1092_dim1_sp_op_CI_CI
; %bb.0:
	s_load_dwordx4 s[8:11], s[0:1], 0x28
	v_mul_u32_u24_e32 v1, 0x4ed, v0
	v_mov_b32_e32 v69, 0
	v_add_u32_sdwa v6, s2, v1 dst_sel:DWORD dst_unused:UNUSED_PAD src0_sel:DWORD src1_sel:WORD_1
	v_mov_b32_e32 v7, v69
	s_waitcnt lgkmcnt(0)
	v_cmp_gt_u64_e32 vcc, s[8:9], v[6:7]
	s_and_saveexec_b64 s[2:3], vcc
	s_cbranch_execz .LBB0_31
; %bb.1:
	s_load_dwordx4 s[4:7], s[0:1], 0x18
	s_load_dwordx2 s[14:15], s[0:1], 0x0
	v_mov_b32_e32 v2, s10
	v_mov_b32_e32 v3, s11
	;; [unrolled: 1-line block ×3, first 2 shown]
	s_waitcnt lgkmcnt(0)
	s_load_dwordx4 s[8:11], s[4:5], 0x0
	v_mul_lo_u16_sdwa v1, v1, v4 dst_sel:DWORD dst_unused:UNUSED_PAD src0_sel:WORD_1 src1_sel:DWORD
	v_sub_u16_e32 v68, v0, v1
	v_accvgpr_write_b32 a34, v6
	v_lshlrev_b32_e32 v136, 3, v68
	s_waitcnt lgkmcnt(0)
	v_mad_u64_u32 v[0:1], s[2:3], s10, v6, 0
	v_mov_b32_e32 v4, v1
	v_mad_u64_u32 v[4:5], s[2:3], s11, v6, v[4:5]
	v_mov_b32_e32 v1, v4
	v_mad_u64_u32 v[4:5], s[2:3], s8, v68, 0
	v_mov_b32_e32 v6, v5
	v_mad_u64_u32 v[6:7], s[2:3], s9, v68, v[6:7]
	v_mov_b32_e32 v137, v69
	v_lshl_add_u64 v[10:11], s[14:15], 0, v[136:137]
	s_mul_i32 s2, s9, 0x222
	s_mul_hi_u32 s3, s8, 0x222
	s_movk_i32 s10, 0x1000
	v_mov_b32_e32 v5, v6
	v_lshl_add_u64 v[0:1], v[0:1], 3, v[2:3]
	s_add_i32 s3, s3, s2
	s_mul_i32 s2, s8, 0x222
	v_add_co_u32_e32 v8, vcc, s10, v10
	v_lshl_add_u64 v[0:1], v[4:5], 3, v[0:1]
	global_load_dwordx2 v[40:41], v136, s[14:15]
	s_lshl_b64 s[4:5], s[2:3], 3
	v_addc_co_u32_e32 v9, vcc, 0, v11, vcc
	v_lshl_add_u64 v[2:3], v[0:1], 0, s[4:5]
	global_load_dwordx2 v[4:5], v[0:1], off
	global_load_dwordx2 v[6:7], v[2:3], off
	global_load_dwordx2 v[42:43], v[8:9], off offset:272
	s_mul_hi_u32 s10, s8, 0xfffffe12
	s_mulk_i32 s9, 0xfe12
	s_sub_i32 s10, s10, s8
	s_add_i32 s17, s10, s9
	s_mul_i32 s16, s8, 0xfffffe12
	s_lshl_b64 s[18:19], s[16:17], 3
	v_lshl_add_u64 v[0:1], v[2:3], 0, s[18:19]
	global_load_dwordx2 v[2:3], v[0:1], off
	global_load_dwordx2 v[80:81], v136, s[14:15] offset:416
	v_accvgpr_write_b32 a0, v10
	v_lshl_add_u64 v[0:1], v[0:1], 0, s[4:5]
	v_accvgpr_write_b32 a1, v11
	global_load_dwordx2 v[78:79], v[8:9], off offset:688
	global_load_dwordx2 v[10:11], v[0:1], off
	v_lshl_add_u64 v[0:1], v[0:1], 0, s[18:19]
	global_load_dwordx2 v[12:13], v[0:1], off
	global_load_dwordx2 v[76:77], v136, s[14:15] offset:832
	v_lshl_add_u64 v[0:1], v[0:1], 0, s[4:5]
	global_load_dwordx2 v[14:15], v[0:1], off
	global_load_dwordx2 v[74:75], v[8:9], off offset:1104
	v_lshl_add_u64 v[0:1], v[0:1], 0, s[18:19]
	global_load_dwordx2 v[16:17], v[0:1], off
	global_load_dwordx2 v[72:73], v136, s[14:15] offset:1248
	v_lshl_add_u64 v[0:1], v[0:1], 0, s[4:5]
	global_load_dwordx2 v[18:19], v[0:1], off
	global_load_dwordx2 v[70:71], v[8:9], off offset:1520
	v_lshl_add_u64 v[0:1], v[0:1], 0, s[18:19]
	global_load_dwordx2 v[20:21], v[0:1], off
	global_load_dwordx2 v[66:67], v136, s[14:15] offset:1664
	v_lshl_add_u64 v[0:1], v[0:1], 0, s[4:5]
	global_load_dwordx2 v[64:65], v[8:9], off offset:1936
	global_load_dwordx2 v[22:23], v[0:1], off
	global_load_dwordx2 v[62:63], v136, s[14:15] offset:2080
	v_lshl_add_u64 v[0:1], v[0:1], 0, s[18:19]
	global_load_dwordx2 v[24:25], v[0:1], off
	global_load_dwordx2 v[60:61], v[8:9], off offset:2352
	v_lshl_add_u64 v[0:1], v[0:1], 0, s[4:5]
	global_load_dwordx2 v[26:27], v[0:1], off
	global_load_dwordx2 v[58:59], v136, s[14:15] offset:2496
	v_lshl_add_u64 v[0:1], v[0:1], 0, s[18:19]
	global_load_dwordx2 v[28:29], v[0:1], off
	v_lshl_add_u64 v[0:1], v[0:1], 0, s[4:5]
	global_load_dwordx2 v[54:55], v[8:9], off offset:2768
	global_load_dwordx2 v[30:31], v[0:1], off
	v_lshl_add_u64 v[0:1], v[0:1], 0, s[18:19]
	s_load_dwordx4 s[8:11], s[6:7], 0x0
	global_load_dwordx2 v[56:57], v136, s[14:15] offset:2912
	global_load_dwordx2 v[52:53], v[8:9], off offset:3184
	global_load_dwordx2 v[32:33], v[0:1], off
	v_lshl_add_u64 v[0:1], v[0:1], 0, s[4:5]
	global_load_dwordx2 v[34:35], v[0:1], off
	v_lshl_add_u64 v[0:1], v[0:1], 0, s[18:19]
	global_load_dwordx2 v[36:37], v[0:1], off
	v_lshl_add_u64 v[0:1], v[0:1], 0, s[4:5]
	global_load_dwordx2 v[50:51], v136, s[14:15] offset:3328
	s_load_dwordx2 s[12:13], s[0:1], 0x38
	s_waitcnt vmcnt(33)
	v_accvgpr_write_b32 a45, v41
	v_accvgpr_write_b32 a44, v40
	s_waitcnt vmcnt(32)
	v_mul_f32_e32 v38, v5, v41
	v_mul_f32_e32 v39, v4, v41
	v_fmac_f32_e32 v38, v4, v40
	v_fma_f32 v39, v5, v40, -v39
	s_waitcnt vmcnt(30)
	v_mul_f32_e32 v4, v7, v43
	v_mul_f32_e32 v5, v6, v43
	v_fmac_f32_e32 v4, v6, v42
	global_load_dwordx2 v[40:41], v[0:1], off
	global_load_dwordx2 v[48:49], v[8:9], off offset:3600
	v_fma_f32 v5, v7, v42, -v5
	ds_write_b64 v136, v[4:5] offset:4368
	v_lshl_add_u64 v[0:1], v[0:1], 0, s[18:19]
	global_load_dwordx2 v[4:5], v[0:1], off
	global_load_dwordx2 v[46:47], v136, s[14:15] offset:3744
	v_accvgpr_write_b32 a42, v42
	v_lshl_add_u64 v[0:1], v[0:1], 0, s[4:5]
	v_accvgpr_write_b32 a43, v43
	global_load_dwordx2 v[42:43], v[0:1], off
	global_load_dwordx2 v[44:45], v[8:9], off offset:4016
	s_waitcnt vmcnt(34)
	v_mul_f32_e32 v6, v3, v81
	v_fmac_f32_e32 v6, v2, v80
	v_mul_f32_e32 v2, v2, v81
	v_fma_f32 v7, v3, v80, -v2
	s_waitcnt vmcnt(32)
	v_mul_f32_e32 v2, v10, v79
	ds_write2_b64 v136, v[38:39], v[6:7] offset1:52
	v_mul_f32_e32 v6, v11, v79
	v_fma_f32 v7, v11, v78, -v2
	s_waitcnt vmcnt(30)
	v_mul_f32_e32 v2, v12, v77
	v_fmac_f32_e32 v6, v10, v78
	v_fma_f32 v9, v13, v76, -v2
	s_waitcnt vmcnt(28)
	v_mul_f32_e32 v10, v15, v75
	v_mul_f32_e32 v2, v14, v75
	v_fmac_f32_e32 v10, v14, v74
	v_fma_f32 v11, v15, v74, -v2
	v_add_u32_e32 v2, 0x1000, v136
	v_mul_f32_e32 v8, v13, v77
	ds_write2_b64 v2, v[6:7], v[10:11] offset0:86 offset1:138
	s_waitcnt vmcnt(26)
	v_mul_f32_e32 v6, v17, v73
	v_mul_f32_e32 v3, v16, v73
	v_fmac_f32_e32 v8, v12, v76
	v_fmac_f32_e32 v6, v16, v72
	v_fma_f32 v7, v17, v72, -v3
	s_waitcnt vmcnt(24)
	v_mul_f32_e32 v3, v18, v71
	ds_write2_b64 v136, v[8:9], v[6:7] offset0:104 offset1:156
	v_fma_f32 v7, v19, v70, -v3
	s_waitcnt vmcnt(22)
	v_mul_f32_e32 v3, v20, v67
	v_mul_f32_e32 v6, v19, v71
	v_fma_f32 v9, v21, v66, -v3
	s_waitcnt vmcnt(20)
	v_mul_f32_e32 v10, v23, v65
	v_mul_f32_e32 v3, v22, v65
	v_fmac_f32_e32 v6, v18, v70
	v_fmac_f32_e32 v10, v22, v64
	v_fma_f32 v11, v23, v64, -v3
	v_mul_f32_e32 v8, v21, v67
	ds_write2_b64 v2, v[6:7], v[10:11] offset0:190 offset1:242
	s_waitcnt vmcnt(18)
	v_mul_f32_e32 v6, v25, v63
	v_mul_f32_e32 v3, v24, v63
	v_fmac_f32_e32 v8, v20, v66
	v_fmac_f32_e32 v6, v24, v62
	v_fma_f32 v7, v25, v62, -v3
	v_add_u32_e32 v3, 0x400, v136
	ds_write2_b64 v3, v[8:9], v[6:7] offset0:80 offset1:132
	s_waitcnt vmcnt(16)
	v_mul_f32_e32 v6, v27, v61
	v_mul_f32_e32 v7, v26, v61
	s_waitcnt vmcnt(12)
	v_mul_f32_e32 v10, v31, v55
	v_mul_f32_e32 v11, v30, v55
	v_fmac_f32_e32 v6, v26, v60
	v_fma_f32 v7, v27, v60, -v7
	v_fmac_f32_e32 v10, v30, v54
	v_fma_f32 v11, v31, v54, -v11
	v_add_u32_e32 v12, 0x1800, v136
	v_mul_f32_e32 v8, v29, v59
	v_mul_f32_e32 v9, v28, v59
	ds_write2_b64 v12, v[6:7], v[10:11] offset0:38 offset1:90
	s_waitcnt vmcnt(9)
	v_mul_f32_e32 v6, v33, v57
	v_mul_f32_e32 v7, v32, v57
	v_fmac_f32_e32 v8, v28, v58
	v_fma_f32 v9, v29, v58, -v9
	v_fmac_f32_e32 v6, v32, v56
	v_fma_f32 v7, v33, v56, -v7
	v_add_u32_e32 v13, 0x800, v136
	ds_write2_b64 v13, v[8:9], v[6:7] offset0:56 offset1:108
	s_waitcnt vmcnt(8)
	v_mul_f32_e32 v6, v35, v53
	v_mul_f32_e32 v7, v34, v53
	v_fmac_f32_e32 v6, v34, v52
	v_fma_f32 v7, v35, v52, -v7
	v_accvgpr_write_b32 a40, v80
	v_accvgpr_write_b32 a38, v78
	;; [unrolled: 1-line block ×4, first 2 shown]
	s_waitcnt vmcnt(4)
	v_mul_f32_e32 v10, v41, v49
	v_mul_f32_e32 v11, v40, v49
	v_fmac_f32_e32 v10, v40, v48
	v_fma_f32 v11, v41, v48, -v11
	ds_write2_b64 v12, v[6:7], v[10:11] offset0:142 offset1:194
	s_waitcnt vmcnt(2)
	v_mul_f32_e32 v6, v5, v47
	v_fmac_f32_e32 v6, v4, v46
	v_mul_f32_e32 v4, v4, v47
	v_accvgpr_write_b32 a30, v72
	v_accvgpr_write_b32 a28, v70
	;; [unrolled: 1-line block ×10, first 2 shown]
	v_mul_f32_e32 v8, v37, v51
	v_mul_f32_e32 v9, v36, v51
	v_accvgpr_write_b32 a8, v50
	v_accvgpr_write_b32 a6, v48
	;; [unrolled: 1-line block ×3, first 2 shown]
	v_fma_f32 v7, v5, v46, -v4
	s_waitcnt vmcnt(0)
	v_mul_f32_e32 v4, v43, v45
	v_mul_f32_e32 v5, v42, v45
	v_accvgpr_write_b32 a2, v44
	v_accvgpr_write_b32 a41, v81
	;; [unrolled: 1-line block ×15, first 2 shown]
	v_fmac_f32_e32 v8, v36, v50
	v_accvgpr_write_b32 a9, v51
	v_fma_f32 v9, v37, v50, -v9
	v_accvgpr_write_b32 a7, v49
	v_accvgpr_write_b32 a5, v47
	v_fmac_f32_e32 v4, v42, v44
	v_accvgpr_write_b32 a3, v45
	v_fma_f32 v5, v43, v44, -v5
	v_cmp_gt_u16_e64 s[4:5], 26, v68
	ds_write2_b64 v13, v[8:9], v[6:7] offset0:160 offset1:212
	ds_write_b64 v136, v[4:5] offset:8112
	s_and_saveexec_b64 s[6:7], s[4:5]
	s_cbranch_execz .LBB0_3
; %bb.2:
	v_accvgpr_read_b32 v9, a1
	v_accvgpr_read_b32 v8, a0
	v_add_co_u32_e32 v6, vcc, 0x1000, v8
	v_lshl_add_u64 v[0:1], s[16:17], 3, v[0:1]
	s_nop 0
	v_addc_co_u32_e32 v7, vcc, 0, v9, vcc
	v_add_co_u32_e32 v8, vcc, 0x2000, v8
	global_load_dwordx2 v[4:5], v[0:1], off
	v_lshl_add_u64 v[0:1], s[2:3], 3, v[0:1]
	global_load_dwordx2 v[6:7], v[6:7], off offset:64
	v_addc_co_u32_e32 v9, vcc, 0, v9, vcc
	global_load_dwordx2 v[8:9], v[8:9], off offset:336
	s_waitcnt vmcnt(1)
	v_mul_f32_e32 v10, v5, v7
	global_load_dwordx2 v[0:1], v[0:1], off
	v_mul_f32_e32 v7, v4, v7
	v_fmac_f32_e32 v10, v4, v6
	v_fma_f32 v11, v5, v6, -v7
	ds_write_b64 v136, v[10:11] offset:4160
	s_waitcnt vmcnt(0)
	v_mul_f32_e32 v4, v1, v9
	v_mul_f32_e32 v5, v0, v9
	v_fmac_f32_e32 v4, v0, v8
	v_fma_f32 v5, v1, v8, -v5
	ds_write_b64 v136, v[4:5] offset:8528
.LBB0_3:
	s_or_b64 exec, exec, s[6:7]
	v_add_u32_e32 v0, 0x1400, v136
	s_waitcnt lgkmcnt(0)
	; wave barrier
	s_waitcnt lgkmcnt(0)
	ds_read2_b64 v[20:23], v136 offset1:52
	ds_read2_b64 v[36:39], v2 offset0:34 offset1:86
	ds_read2_b64 v[16:19], v136 offset0:104 offset1:156
	;; [unrolled: 1-line block ×9, first 2 shown]
                                        ; implicit-def: $vgpr40
                                        ; implicit-def: $vgpr42
	s_and_saveexec_b64 s[2:3], s[4:5]
	s_cbranch_execz .LBB0_5
; %bb.4:
	ds_read_b64 v[40:41], v136 offset:4160
	ds_read_b64 v[42:43], v136 offset:8528
.LBB0_5:
	s_or_b64 exec, exec, s[2:3]
	v_lshl_add_u64 v[64:65], v[68:69], 0, 52
	s_mov_b64 s[2:3], 0x68
	s_waitcnt lgkmcnt(8)
	v_pk_add_f32 v[36:37], v[20:21], v[36:37] neg_lo:[0,1] neg_hi:[0,1]
	v_lshl_add_u64 v[54:55], v[68:69], 0, s[2:3]
	s_mov_b64 s[2:3], 0xd0
	v_pk_add_f32 v[38:39], v[22:23], v[38:39] neg_lo:[0,1] neg_hi:[0,1]
	s_waitcnt lgkmcnt(6)
	v_pk_add_f32 v[44:45], v[18:19], v[34:35] neg_lo:[0,1] neg_hi:[0,1]
	s_waitcnt lgkmcnt(2)
	v_pk_add_f32 v[58:59], v[6:7], v[26:27] neg_lo:[0,1] neg_hi:[0,1]
	v_lshlrev_b32_e32 v26, 4, v68
	v_pk_fma_f32 v[34:35], v[20:21], 2.0, v[36:37] op_sel_hi:[1,0,1] neg_lo:[0,0,1] neg_hi:[0,0,1]
	v_lshlrev_b32_e32 v20, 1, v64
	v_lshl_add_u64 v[50:51], v[68:69], 0, s[2:3]
	s_mov_b64 s[2:3], 0x104
	s_waitcnt lgkmcnt(0)
	; wave barrier
	s_waitcnt lgkmcnt(0)
	ds_write_b128 v26, v[34:37]
	v_accvgpr_write_b32 a67, v20
	v_lshlrev_b32_e32 v20, 4, v64
	v_pk_fma_f32 v[36:37], v[22:23], 2.0, v[38:39] op_sel_hi:[1,0,1] neg_lo:[0,0,1] neg_hi:[0,0,1]
	v_lshl_add_u64 v[52:53], v[68:69], 0, s[2:3]
	s_mov_b64 s[2:3], 0x138
	v_lshlrev_b32_e32 v51, 1, v68
	v_pk_add_f32 v[32:33], v[16:17], v[32:33] neg_lo:[0,1] neg_hi:[0,1]
	v_accvgpr_write_b32 a47, v20
	ds_write_b128 v20, v[36:39]
	v_lshlrev_b32_e32 v20, 1, v54
	v_lshl_add_u64 v[56:57], v[68:69], 0, s[2:3]
	s_mov_b64 s[2:3], 0x208
	v_pk_add_f32 v[28:29], v[8:9], v[28:29] neg_lo:[0,1] neg_hi:[0,1]
	v_pk_add_f32 v[46:47], v[10:11], v[30:31] neg_lo:[0,1] neg_hi:[0,1]
	;; [unrolled: 1-line block ×4, first 2 shown]
	v_accvgpr_write_b32 a76, v20
	v_lshlrev_b32_e32 v20, 4, v54
	v_pk_fma_f32 v[30:31], v[16:17], 2.0, v[32:33] op_sel_hi:[1,0,1] neg_lo:[0,0,1] neg_hi:[0,0,1]
	v_add_u32_e32 v16, 0x138, v51
	v_pk_fma_f32 v[42:43], v[18:19], 2.0, v[44:45] op_sel_hi:[1,0,1] neg_lo:[0,0,1] neg_hi:[0,0,1]
	v_lshlrev_b32_e32 v17, 3, v51
	s_load_dwordx2 s[0:1], s[0:1], 0x8
	v_lshl_add_u64 v[48:49], v[68:69], 0, s[2:3]
	v_pk_add_f32 v[24:25], v[4:5], v[24:25] neg_lo:[0,1] neg_hi:[0,1]
	v_accvgpr_write_b32 a46, v26
	ds_write_b128 v20, v[30:33]
	v_accvgpr_write_b32 a77, v16
	ds_write_b128 v17, v[42:45] offset:2496
	v_lshlrev_b32_e32 v16, 4, v50
	v_pk_fma_f32 v[26:27], v[8:9], 2.0, v[28:29] op_sel_hi:[1,0,1] neg_lo:[0,0,1] neg_hi:[0,0,1]
	v_lshlrev_b32_e32 v8, 4, v52
	v_pk_fma_f32 v[44:45], v[10:11], 2.0, v[46:47] op_sel_hi:[1,0,1] neg_lo:[0,0,1] neg_hi:[0,0,1]
	v_pk_add_f32 v[60:61], v[0:1], v[12:13] neg_lo:[0,1] neg_hi:[0,1]
	ds_write_b128 v16, v[26:29]
	v_accvgpr_write_b32 a51, v8
	ds_write_b128 v8, v[44:47]
	v_lshlrev_b32_e32 v49, 1, v56
	v_lshlrev_b32_e32 v8, 4, v56
	v_pk_fma_f32 v[22:23], v[4:5], 2.0, v[24:25] op_sel_hi:[1,0,1] neg_lo:[0,0,1] neg_hi:[0,0,1]
	v_pk_fma_f32 v[56:57], v[6:7], 2.0, v[58:59] op_sel_hi:[1,0,1] neg_lo:[0,0,1] neg_hi:[0,0,1]
	ds_write_b128 v8, v[22:25]
	v_add_u32_e32 v4, 0x2d8, v51
	ds_write_b128 v17, v[56:59] offset:5824
	v_pk_fma_f32 v[58:59], v[0:1], 2.0, v[60:61] op_sel_hi:[1,0,1] neg_lo:[0,0,1] neg_hi:[0,0,1]
	v_add_u32_e32 v0, 0x3a8, v51
	v_accvgpr_write_b32 a59, v4
	v_add_u32_e32 v4, 0x340, v51
	v_accvgpr_write_b32 a61, v0
	v_lshlrev_b32_e32 v0, 4, v48
	v_pk_fma_f32 v[12:13], v[40:41], 2.0, v[14:15] op_sel_hi:[1,0,1] neg_lo:[0,0,1] neg_hi:[0,0,1]
	v_accvgpr_write_b32 a82, v64
	v_accvgpr_write_b32 a80, v54
	;; [unrolled: 1-line block ×3, first 2 shown]
	v_lshlrev_b32_e32 v54, 1, v50
	v_accvgpr_write_b32 a49, v16
	v_lshlrev_b32_e32 v50, 1, v52
	v_accvgpr_write_b32 a52, v8
	v_accvgpr_write_b32 a60, v4
	ds_write_b128 v17, v[58:61] offset:6656
	v_pk_fma_f32 v[60:61], v[2:3], 2.0, v[62:63] op_sel_hi:[1,0,1] neg_lo:[0,0,1] neg_hi:[0,0,1]
	v_accvgpr_write_b32 a78, v17
	v_accvgpr_write_b32 a50, v0
	ds_write_b128 v17, v[60:63] offset:7488
	s_and_saveexec_b64 s[2:3], s[4:5]
	s_cbranch_execz .LBB0_7
; %bb.6:
	v_accvgpr_read_b32 v0, a50
	ds_write_b128 v0, v[12:15]
.LBB0_7:
	s_or_b64 exec, exec, s[2:3]
	v_add_u32_e32 v0, 0x1000, v136
	s_waitcnt lgkmcnt(0)
	; wave barrier
	s_waitcnt lgkmcnt(0)
	ds_read2_b64 v[32:35], v136 offset1:52
	ds_read2_b64 v[36:39], v0 offset0:34 offset1:86
	ds_read2_b64 v[16:19], v136 offset0:104 offset1:156
	;; [unrolled: 1-line block ×3, first 2 shown]
	v_add_u32_e32 v0, 0x400, v136
	v_add_u32_e32 v4, 0x1400, v136
	;; [unrolled: 1-line block ×4, first 2 shown]
	ds_read2_b64 v[0:3], v0 offset0:80 offset1:132
	ds_read2_b64 v[8:11], v4 offset0:114 offset1:166
	ds_read2_b64 v[4:7], v28 offset0:56 offset1:108
	ds_read2_b64 v[24:27], v29 offset0:90 offset1:142
	ds_read2_b64 v[40:43], v28 offset0:160 offset1:212
	ds_read2_b64 v[44:47], v29 offset0:194 offset1:246
	s_and_saveexec_b64 s[2:3], s[4:5]
	s_cbranch_execz .LBB0_9
; %bb.8:
	ds_read_b64 v[12:13], v136 offset:4160
	ds_read_b64 v[14:15], v136 offset:8528
.LBB0_9:
	s_or_b64 exec, exec, s[2:3]
	v_and_b32_e32 v55, 1, v68
	v_lshlrev_b32_e32 v28, 3, v55
	global_load_dwordx2 v[182:183], v28, s[0:1]
	s_movk_i32 s2, 0x7c
	s_waitcnt lgkmcnt(0)
	; wave barrier
	s_waitcnt lgkmcnt(0)
	s_movk_i32 s3, 0x2fc
	v_accvgpr_write_b32 a35, v55
	s_waitcnt vmcnt(0)
	v_pk_mul_f32 v[28:29], v[24:25], v[182:183] op_sel:[0,1]
	s_nop 0
	v_pk_fma_f32 v[30:31], v[24:25], v[182:183], v[28:29] op_sel:[0,0,1] op_sel_hi:[1,1,0] neg_lo:[0,0,1] neg_hi:[0,0,1]
	v_pk_fma_f32 v[24:25], v[24:25], v[182:183], v[28:29] op_sel:[0,0,1] op_sel_hi:[1,0,0]
	s_nop 0
	v_mov_b32_e32 v31, v25
	v_pk_mul_f32 v[24:25], v[26:27], v[182:183] op_sel:[0,1]
	v_pk_add_f32 v[28:29], v[4:5], v[30:31] neg_lo:[0,1] neg_hi:[0,1]
	v_pk_fma_f32 v[30:31], v[26:27], v[182:183], v[24:25] op_sel:[0,0,1] op_sel_hi:[1,1,0] neg_lo:[0,0,1] neg_hi:[0,0,1]
	v_pk_fma_f32 v[24:25], v[26:27], v[182:183], v[24:25] op_sel:[0,0,1] op_sel_hi:[1,0,0]
	s_nop 0
	v_mov_b32_e32 v31, v25
	v_pk_add_f32 v[24:25], v[6:7], v[30:31] neg_lo:[0,1] neg_hi:[0,1]
	s_nop 0
	v_pk_fma_f32 v[30:31], v[6:7], 2.0, v[24:25] op_sel_hi:[1,0,1] neg_lo:[0,0,1] neg_hi:[0,0,1]
	v_pk_mul_f32 v[6:7], v[44:45], v[182:183] op_sel:[0,1]
	s_nop 0
	v_pk_fma_f32 v[26:27], v[44:45], v[182:183], v[6:7] op_sel:[0,0,1] op_sel_hi:[1,1,0] neg_lo:[0,0,1] neg_hi:[0,0,1]
	v_pk_fma_f32 v[6:7], v[44:45], v[182:183], v[6:7] op_sel:[0,0,1] op_sel_hi:[1,0,0]
	s_nop 0
	v_mov_b32_e32 v27, v7
	v_pk_add_f32 v[56:57], v[40:41], v[26:27] neg_lo:[0,1] neg_hi:[0,1]
	v_pk_mul_f32 v[6:7], v[46:47], v[182:183] op_sel:[0,1]
	v_pk_fma_f32 v[26:27], v[40:41], 2.0, v[56:57] op_sel_hi:[1,0,1] neg_lo:[0,0,1] neg_hi:[0,0,1]
	v_pk_fma_f32 v[40:41], v[46:47], v[182:183], v[6:7] op_sel:[0,0,1] op_sel_hi:[1,1,0] neg_lo:[0,0,1] neg_hi:[0,0,1]
	v_pk_fma_f32 v[6:7], v[46:47], v[182:183], v[6:7] op_sel:[0,0,1] op_sel_hi:[1,0,0]
	s_nop 0
	v_mov_b32_e32 v41, v7
	v_pk_mul_f32 v[6:7], v[14:15], v[182:183] op_sel:[1,0]
	v_pk_add_f32 v[60:61], v[42:43], v[40:41] neg_lo:[0,1] neg_hi:[0,1]
	v_pk_fma_f32 v[40:41], v[14:15], v[182:183], v[6:7] op_sel:[0,0,1] op_sel_hi:[1,1,0] neg_lo:[0,0,1] neg_hi:[0,0,1]
	v_pk_fma_f32 v[6:7], v[14:15], v[182:183], v[6:7] op_sel:[0,0,1] op_sel_hi:[0,1,0]
	v_mov_b32_e32 v41, v7
	v_and_or_b32 v6, v51, s2, v55
	v_pk_add_f32 v[52:53], v[12:13], v[40:41] neg_lo:[0,1] neg_hi:[0,1]
	v_lshlrev_b32_e32 v14, 3, v6
	v_pk_mul_f32 v[6:7], v[36:37], v[182:183] op_sel:[0,1]
	v_pk_fma_f32 v[62:63], v[12:13], 2.0, v[52:53] op_sel_hi:[1,0,1] neg_lo:[0,0,1] neg_hi:[0,0,1]
	v_pk_fma_f32 v[12:13], v[36:37], v[182:183], v[6:7] op_sel:[0,0,1] op_sel_hi:[1,1,0] neg_lo:[0,0,1] neg_hi:[0,0,1]
	v_pk_fma_f32 v[6:7], v[36:37], v[182:183], v[6:7] op_sel:[0,0,1] op_sel_hi:[1,0,0]
	s_movk_i32 s2, 0xfc
	v_mov_b32_e32 v13, v7
	v_pk_add_f32 v[6:7], v[32:33], v[12:13] neg_lo:[0,1] neg_hi:[0,1]
	v_accvgpr_write_b32 a53, v14
	v_pk_fma_f32 v[12:13], v[32:33], 2.0, v[6:7] op_sel_hi:[1,0,1] neg_lo:[0,0,1] neg_hi:[0,0,1]
	ds_write2_b64 v14, v[12:13], v[6:7] offset1:2
	v_accvgpr_read_b32 v6, a67
	v_and_or_b32 v6, v6, s2, v55
	v_lshlrev_b32_e32 v14, 3, v6
	v_pk_mul_f32 v[6:7], v[38:39], v[182:183] op_sel:[0,1]
	s_movk_i32 s2, 0x1fc
	v_pk_fma_f32 v[12:13], v[38:39], v[182:183], v[6:7] op_sel:[0,0,1] op_sel_hi:[1,1,0] neg_lo:[0,0,1] neg_hi:[0,0,1]
	v_pk_fma_f32 v[6:7], v[38:39], v[182:183], v[6:7] op_sel:[0,0,1] op_sel_hi:[1,0,0]
	v_accvgpr_write_b32 a54, v14
	v_mov_b32_e32 v13, v7
	v_pk_add_f32 v[6:7], v[34:35], v[12:13] neg_lo:[0,1] neg_hi:[0,1]
	v_pk_fma_f32 v[58:59], v[42:43], 2.0, v[60:61] op_sel_hi:[1,0,1] neg_lo:[0,0,1] neg_hi:[0,0,1]
	v_pk_fma_f32 v[12:13], v[34:35], 2.0, v[6:7] op_sel_hi:[1,0,1] neg_lo:[0,0,1] neg_hi:[0,0,1]
	ds_write2_b64 v14, v[12:13], v[6:7] offset1:2
	v_accvgpr_read_b32 v6, a76
	v_and_or_b32 v6, v6, s2, v55
	v_lshlrev_b32_e32 v14, 3, v6
	v_pk_mul_f32 v[6:7], v[20:21], v[182:183] op_sel:[0,1]
	v_accvgpr_write_b32 a55, v14
	v_pk_fma_f32 v[12:13], v[20:21], v[182:183], v[6:7] op_sel:[0,0,1] op_sel_hi:[1,1,0] neg_lo:[0,0,1] neg_hi:[0,0,1]
	v_pk_fma_f32 v[6:7], v[20:21], v[182:183], v[6:7] op_sel:[0,0,1] op_sel_hi:[1,0,0]
	s_nop 0
	v_mov_b32_e32 v13, v7
	v_pk_add_f32 v[6:7], v[16:17], v[12:13] neg_lo:[0,1] neg_hi:[0,1]
	s_nop 0
	v_pk_fma_f32 v[12:13], v[16:17], 2.0, v[6:7] op_sel_hi:[1,0,1] neg_lo:[0,0,1] neg_hi:[0,0,1]
	ds_write2_b64 v14, v[12:13], v[6:7] offset1:2
	v_accvgpr_read_b32 v6, a77
	v_and_or_b32 v6, v6, s2, v55
	v_lshlrev_b32_e32 v14, 3, v6
	v_pk_mul_f32 v[6:7], v[22:23], v[182:183] op_sel:[0,1]
	s_movk_i32 s2, 0x3fc
	v_pk_fma_f32 v[12:13], v[22:23], v[182:183], v[6:7] op_sel:[0,0,1] op_sel_hi:[1,1,0] neg_lo:[0,0,1] neg_hi:[0,0,1]
	v_pk_fma_f32 v[6:7], v[22:23], v[182:183], v[6:7] op_sel:[0,0,1] op_sel_hi:[1,0,0]
	v_accvgpr_write_b32 a56, v14
	v_mov_b32_e32 v13, v7
	v_pk_add_f32 v[6:7], v[18:19], v[12:13] neg_lo:[0,1] neg_hi:[0,1]
	s_nop 0
	v_pk_fma_f32 v[12:13], v[18:19], 2.0, v[6:7] op_sel_hi:[1,0,1] neg_lo:[0,0,1] neg_hi:[0,0,1]
	ds_write2_b64 v14, v[12:13], v[6:7] offset1:2
	v_and_or_b32 v6, v54, s2, v55
	v_lshlrev_b32_e32 v14, 3, v6
	v_pk_mul_f32 v[6:7], v[8:9], v[182:183] op_sel:[0,1]
	v_accvgpr_write_b32 a57, v14
	v_pk_fma_f32 v[12:13], v[8:9], v[182:183], v[6:7] op_sel:[0,0,1] op_sel_hi:[1,1,0] neg_lo:[0,0,1] neg_hi:[0,0,1]
	v_pk_fma_f32 v[6:7], v[8:9], v[182:183], v[6:7] op_sel:[0,0,1] op_sel_hi:[1,0,0]
	s_nop 0
	v_mov_b32_e32 v13, v7
	v_pk_add_f32 v[6:7], v[0:1], v[12:13] neg_lo:[0,1] neg_hi:[0,1]
	s_nop 0
	v_pk_fma_f32 v[0:1], v[0:1], 2.0, v[6:7] op_sel_hi:[1,0,1] neg_lo:[0,0,1] neg_hi:[0,0,1]
	ds_write2_b64 v14, v[0:1], v[6:7] offset1:2
	v_and_or_b32 v0, v50, s3, v55
	v_lshlrev_b32_e32 v8, 3, v0
	v_pk_mul_f32 v[0:1], v[10:11], v[182:183] op_sel:[0,1]
	v_accvgpr_write_b32 a58, v8
	v_pk_fma_f32 v[6:7], v[10:11], v[182:183], v[0:1] op_sel:[0,0,1] op_sel_hi:[1,1,0] neg_lo:[0,0,1] neg_hi:[0,0,1]
	v_pk_fma_f32 v[0:1], v[10:11], v[182:183], v[0:1] op_sel:[0,0,1] op_sel_hi:[1,0,0]
	s_nop 0
	v_mov_b32_e32 v7, v1
	v_pk_add_f32 v[0:1], v[2:3], v[6:7] neg_lo:[0,1] neg_hi:[0,1]
	s_nop 0
	v_pk_fma_f32 v[2:3], v[2:3], 2.0, v[0:1] op_sel_hi:[1,0,1] neg_lo:[0,0,1] neg_hi:[0,0,1]
	ds_write2_b64 v8, v[2:3], v[0:1] offset1:2
	v_and_or_b32 v0, v49, s3, v55
	v_lshlrev_b32_e32 v2, 3, v0
	v_pk_fma_f32 v[0:1], v[4:5], 2.0, v[28:29] op_sel_hi:[1,0,1] neg_lo:[0,0,1] neg_hi:[0,0,1]
	ds_write2_b64 v2, v[0:1], v[28:29] offset1:2
	v_accvgpr_read_b32 v0, a59
	v_and_or_b32 v0, v0, s2, v55
	v_lshlrev_b32_e32 v0, 3, v0
	v_accvgpr_write_b32 a64, v0
	ds_write2_b64 v0, v[30:31], v[24:25] offset1:2
	v_accvgpr_read_b32 v0, a60
	v_and_or_b32 v0, v0, s2, v55
	v_lshlrev_b32_e32 v0, 3, v0
	v_accvgpr_write_b32 a65, v0
	ds_write2_b64 v0, v[26:27], v[56:57] offset1:2
	s_movk_i32 s2, 0x7fc
	v_accvgpr_read_b32 v0, a61
	v_and_or_b32 v0, v0, s2, v55
	v_lshlrev_b32_e32 v0, 3, v0
	v_accvgpr_write_b32 a66, v0
	ds_write2_b64 v0, v[58:59], v[60:61] offset1:2
	v_lshlrev_b32_e32 v0, 1, v48
	v_accvgpr_write_b32 a62, v2
	v_accvgpr_write_b32 a63, v0
	s_and_saveexec_b64 s[2:3], s[4:5]
	s_cbranch_execz .LBB0_11
; %bb.10:
	s_movk_i32 s6, 0x47c
	v_accvgpr_read_b32 v0, a35
	v_accvgpr_read_b32 v1, a63
	v_and_or_b32 v0, v1, s6, v0
	v_lshlrev_b32_e32 v0, 3, v0
	ds_write2_b64 v0, v[62:63], v[52:53] offset1:2
.LBB0_11:
	s_or_b64 exec, exec, s[2:3]
	v_add_u32_e32 v1, 0xc00, v136
	s_waitcnt lgkmcnt(0)
	; wave barrier
	s_waitcnt lgkmcnt(0)
	ds_read2_b64 v[32:35], v136 offset1:84
	ds_read2_b64 v[16:19], v136 offset0:168 offset1:252
	v_add_u32_e32 v0, 0x800, v136
	ds_read2_b64 v[44:47], v1 offset0:120 offset1:204
	v_add_u32_e32 v1, 0x1000, v136
	v_add_u32_e32 v2, 0x1800, v136
	ds_read2_b64 v[48:51], v0 offset0:80 offset1:164
	ds_read2_b64 v[40:43], v1 offset0:160 offset1:244
	;; [unrolled: 1-line block ×3, first 2 shown]
	ds_read_b64 v[210:211], v136 offset:8064
	v_cmp_gt_u16_e64 s[2:3], 32, v68
                                        ; implicit-def: $vgpr82
                                        ; implicit-def: $vgpr64
                                        ; implicit-def: $vgpr84
                                        ; implicit-def: $vgpr86
                                        ; implicit-def: $vgpr80
                                        ; implicit-def: $vgpr88
	s_and_saveexec_b64 s[6:7], s[2:3]
	s_cbranch_execz .LBB0_13
; %bb.12:
	v_add_u32_e32 v3, 0x400, v136
	ds_read2_b64 v[24:27], v3 offset0:92 offset1:176
	v_add_u32_e32 v3, 0x1400, v136
	ds_read2_b64 v[28:31], v136 offset0:52 offset1:136
	ds_read2_b64 v[52:55], v3 offset0:84 offset1:168
	;; [unrolled: 1-line block ×4, first 2 shown]
	ds_read_b64 v[80:81], v136 offset:8480
	ds_read2_b64 v[60:63], v1 offset0:44 offset1:128
	s_waitcnt lgkmcnt(4)
	v_mov_b32_e32 v82, v55
	s_waitcnt lgkmcnt(3)
	v_mov_b32_e32 v84, v65
	v_mov_b32_e32 v86, v67
	s_waitcnt lgkmcnt(1)
	v_mov_b32_e32 v88, v81
.LBB0_13:
	s_or_b64 exec, exec, s[6:7]
	v_and_b32_e32 v70, 3, v68
	v_mul_u32_u24_e32 v0, 12, v70
	v_lshlrev_b32_e32 v20, 3, v0
	global_load_dwordx4 v[8:11], v20, s[0:1] offset:64
	global_load_dwordx4 v[4:7], v20, s[0:1] offset:48
	;; [unrolled: 1-line block ×4, first 2 shown]
	s_mov_b32 s16, 0xbf6f5d39
	s_mov_b32 s6, 0xbeb58ec6
	;; [unrolled: 1-line block ×24, first 2 shown]
	v_accvgpr_write_b32 a27, v70
	v_accvgpr_write_b32 a26, v68
	s_waitcnt vmcnt(1) lgkmcnt(5)
	v_mul_f32_e32 v237, v18, v1
	s_waitcnt vmcnt(0)
	v_mul_f32_e32 v21, v35, v13
	v_fma_f32 v71, v34, v12, -v21
	v_mul_f32_e32 v21, v17, v15
	v_fma_f32 v242, v16, v14, -v21
	v_mul_f32_e32 v243, v16, v15
	v_mul_f32_e32 v16, v19, v1
	v_fmac_f32_e32 v243, v17, v14
	v_fma_f32 v236, v18, v0, -v16
	v_fmac_f32_e32 v237, v19, v0
	global_load_dwordx4 v[16:19], v20, s[0:1] offset:96
	s_nop 0
	global_load_dwordx4 v[20:23], v20, s[0:1] offset:80
	v_mul_f32_e32 v69, v34, v13
	v_fmac_f32_e32 v69, v35, v12
	v_pk_mul_f32 v[34:35], v[30:31], v[12:13] op_sel:[1,0]
	v_add_f32_e32 v206, v32, v71
	v_pk_fma_f32 v[74:75], v[30:31], v[12:13], v[34:35] op_sel:[0,0,1] op_sel_hi:[1,1,0] neg_lo:[0,0,1] neg_hi:[0,0,1]
	v_pk_fma_f32 v[30:31], v[30:31], v[12:13], v[34:35] op_sel:[0,0,1] op_sel_hi:[0,1,0]
	v_mov_b32_e32 v75, v31
	v_pk_mul_f32 v[30:31], v[24:25], v[14:15] op_sel:[1,0]
	v_accvgpr_write_b32 a87, v75
	v_pk_fma_f32 v[72:73], v[24:25], v[14:15], v[30:31] op_sel:[0,0,1] op_sel_hi:[1,1,0] neg_lo:[0,0,1] neg_hi:[0,0,1]
	v_pk_fma_f32 v[24:25], v[24:25], v[14:15], v[30:31] op_sel:[0,0,1] op_sel_hi:[0,1,0]
	v_mov_b32_e32 v73, v25
	v_pk_mul_f32 v[24:25], v[26:27], v[0:1] op_sel:[1,0]
	v_accvgpr_write_b32 a86, v74
	;; [unrolled: 5-line block ×4, first 2 shown]
	v_pk_fma_f32 v[56:57], v[58:59], v[4:5], v[24:25] op_sel:[0,0,1] op_sel_hi:[1,1,0] neg_lo:[0,0,1] neg_hi:[0,0,1]
	v_pk_fma_f32 v[24:25], v[58:59], v[4:5], v[24:25] op_sel:[0,0,1] op_sel_hi:[0,1,0]
	v_mov_b32_e32 v57, v25
	s_waitcnt lgkmcnt(0)
	v_pk_mul_f32 v[24:25], v[60:61], v[6:7] op_sel:[1,0]
	v_accvgpr_write_b32 a89, v31
	v_pk_fma_f32 v[58:59], v[60:61], v[6:7], v[24:25] op_sel:[0,0,1] op_sel_hi:[1,1,0] neg_lo:[0,0,1] neg_hi:[0,0,1]
	v_pk_fma_f32 v[24:25], v[60:61], v[6:7], v[24:25] op_sel:[0,0,1] op_sel_hi:[0,1,0]
	v_mov_b32_e32 v59, v25
	v_pk_mul_f32 v[24:25], v[62:63], v[8:9] op_sel:[1,0]
	v_accvgpr_write_b32 a88, v30
	v_pk_fma_f32 v[60:61], v[62:63], v[8:9], v[24:25] op_sel:[0,0,1] op_sel_hi:[1,1,0] neg_lo:[0,0,1] neg_hi:[0,0,1]
	v_pk_fma_f32 v[24:25], v[62:63], v[8:9], v[24:25] op_sel:[0,0,1] op_sel_hi:[0,1,0]
	v_mov_b32_e32 v61, v25
	v_pk_mul_f32 v[24:25], v[52:53], v[10:11] op_sel:[1,0]
	v_pk_add_f32 v[106:107], v[58:59], v[60:61] neg_lo:[0,1] neg_hi:[0,1]
	v_pk_fma_f32 v[62:63], v[52:53], v[10:11], v[24:25] op_sel:[0,0,1] op_sel_hi:[1,1,0] neg_lo:[0,0,1] neg_hi:[0,0,1]
	v_pk_fma_f32 v[24:25], v[52:53], v[10:11], v[24:25] op_sel:[0,0,1] op_sel_hi:[0,1,0]
	v_mov_b32_e32 v63, v25
	v_pk_add_f32 v[104:105], v[56:57], v[62:63] neg_lo:[0,1] neg_hi:[0,1]
	v_pk_add_f32 v[102:103], v[56:57], v[62:63]
	v_pk_add_f32 v[112:113], v[58:59], v[60:61]
	v_add_f32_e32 v207, v33, v69
	s_waitcnt lgkmcnt(0)
	; wave barrier
	v_accvgpr_write_b32 a113, v105
	v_accvgpr_write_b32 a112, v104
	v_accvgpr_write_b32 a117, v107
	v_accvgpr_write_b32 a116, v106
	s_waitcnt vmcnt(0)
	v_pk_mul_f32 v[24:25], v[82:83], v[20:21] op_sel_hi:[0,1]
	v_pk_fma_f32 v[52:53], v[54:55], v[20:21], v[24:25] op_sel:[0,0,1] op_sel_hi:[1,1,0] neg_lo:[0,0,1] neg_hi:[0,0,1]
	v_pk_fma_f32 v[24:25], v[54:55], v[20:21], v[24:25] op_sel:[0,0,1] op_sel_hi:[0,1,0]
	v_mov_b32_e32 v53, v25
	v_pk_mul_f32 v[24:25], v[84:85], v[22:23] op_sel_hi:[0,1]
	v_pk_fma_f32 v[54:55], v[64:65], v[22:23], v[24:25] op_sel:[0,0,1] op_sel_hi:[1,1,0] neg_lo:[0,0,1] neg_hi:[0,0,1]
	v_pk_fma_f32 v[24:25], v[64:65], v[22:23], v[24:25] op_sel:[0,0,1] op_sel_hi:[0,1,0]
	v_mov_b32_e32 v55, v25
	;; [unrolled: 4-line block ×4, first 2 shown]
	v_pk_add_f32 v[34:35], v[74:75], v[66:67]
	v_pk_add_f32 v[74:75], v[74:75], v[66:67] neg_lo:[0,1] neg_hi:[0,1]
	v_pk_add_f32 v[80:81], v[72:73], v[64:65] neg_lo:[0,1] neg_hi:[0,1]
	v_pk_mul_f32 v[24:25], v[74:75], s[16:17] op_sel:[1,0] op_sel_hi:[0,0]
	v_pk_fma_f32 v[26:27], v[34:35], s[6:7], v[24:25] op_sel_hi:[1,0,1]
	v_pk_fma_f32 v[76:77], v[34:35], s[6:7], v[24:25] op_sel_hi:[1,0,1] neg_lo:[0,0,1] neg_hi:[0,0,1]
	v_accvgpr_write_b32 a79, v27
	v_mov_b32_e32 v24, v26
	v_pk_add_f32 v[82:83], v[72:73], v[64:65]
	v_pk_mul_f32 v[26:27], v[80:81], s[36:37] op_sel:[1,0] op_sel_hi:[0,0]
	v_accvgpr_write_b32 a92, v76
	v_mov_b32_e32 v25, v77
	v_pk_fma_f32 v[72:73], v[82:83], s[18:19], v[26:27] op_sel_hi:[1,0,1]
	v_pk_fma_f32 v[76:77], v[82:83], s[18:19], v[26:27] op_sel_hi:[1,0,1] neg_lo:[0,0,1] neg_hi:[0,0,1]
	v_pk_add_f32 v[24:25], v[28:29], v[24:25]
	v_mov_b32_e32 v26, v72
	v_mov_b32_e32 v27, v77
	v_pk_add_f32 v[24:25], v[26:27], v[24:25]
	v_pk_mul_f32 v[26:27], v[74:75], s[20:21] op_sel:[1,0] op_sel_hi:[0,0]
	v_accvgpr_write_b32 a81, v73
	v_pk_fma_f32 v[86:87], v[34:35], s[18:19], v[26:27] op_sel_hi:[1,0,1]
	v_pk_fma_f32 v[72:73], v[34:35], s[18:19], v[26:27] op_sel_hi:[1,0,1] neg_lo:[0,0,1] neg_hi:[0,0,1]
	v_pk_mul_f32 v[26:27], v[80:81], s[26:27] op_sel:[1,0] op_sel_hi:[0,0]
	v_pk_add_f32 v[92:93], v[30:31], v[54:55] neg_lo:[0,1] neg_hi:[0,1]
	v_accvgpr_write_b32 a94, v76
	v_pk_fma_f32 v[100:101], v[82:83], s[22:23], v[26:27] op_sel_hi:[1,0,1]
	v_pk_fma_f32 v[76:77], v[82:83], s[22:23], v[26:27] op_sel_hi:[1,0,1] neg_lo:[0,0,1] neg_hi:[0,0,1]
	v_pk_add_f32 v[96:97], v[30:31], v[54:55]
	v_pk_mul_f32 v[26:27], v[92:93], s[28:29] op_sel:[1,0] op_sel_hi:[0,0]
	v_pk_fma_f32 v[30:31], v[96:97], s[24:25], v[26:27] op_sel_hi:[1,0,1]
	v_pk_fma_f32 v[84:85], v[96:97], s[24:25], v[26:27] op_sel_hi:[1,0,1] neg_lo:[0,0,1] neg_hi:[0,0,1]
	v_mov_b32_e32 v26, v30
	v_mov_b32_e32 v27, v85
	v_pk_add_f32 v[94:95], v[78:79], v[52:53] neg_lo:[0,1] neg_hi:[0,1]
	v_pk_add_f32 v[24:25], v[26:27], v[24:25]
	v_pk_add_f32 v[98:99], v[78:79], v[52:53]
	v_pk_mul_f32 v[26:27], v[94:95], s[38:39] op_sel:[1,0] op_sel_hi:[0,0]
	v_accvgpr_write_b32 a83, v31
	v_accvgpr_write_b32 a102, v84
	v_pk_fma_f32 v[30:31], v[98:99], s[22:23], v[26:27] op_sel_hi:[1,0,1]
	v_pk_fma_f32 v[84:85], v[98:99], s[22:23], v[26:27] op_sel_hi:[1,0,1] neg_lo:[0,0,1] neg_hi:[0,0,1]
	v_mov_b32_e32 v26, v30
	v_mov_b32_e32 v27, v85
	v_pk_add_f32 v[24:25], v[26:27], v[24:25]
	v_pk_mul_f32 v[26:27], v[104:105], s[48:49] op_sel:[1,0] op_sel_hi:[0,0]
	v_accvgpr_write_b32 a93, v31
	v_accvgpr_write_b32 a104, v84
	v_pk_fma_f32 v[30:31], v[102:103], s[30:31], v[26:27] op_sel_hi:[1,0,1]
	v_pk_fma_f32 v[84:85], v[102:103], s[30:31], v[26:27] op_sel_hi:[1,0,1] neg_lo:[0,0,1] neg_hi:[0,0,1]
	v_mov_b32_e32 v26, v30
	v_mov_b32_e32 v27, v85
	v_accvgpr_write_b32 a95, v31
	v_pk_add_f32 v[30:31], v[26:27], v[24:25]
	v_pk_mul_f32 v[24:25], v[74:75], s[44:45] op_sel:[1,0] op_sel_hi:[0,0]
	v_pk_fma_f32 v[26:27], v[34:35], s[24:25], v[24:25] op_sel_hi:[1,0,1]
	v_accvgpr_write_b32 a106, v84
	v_pk_fma_f32 v[84:85], v[34:35], s[24:25], v[24:25] op_sel_hi:[1,0,1] neg_lo:[0,0,1] neg_hi:[0,0,1]
	v_accvgpr_write_b32 a99, v27
	v_mov_b32_e32 v24, v26
	v_pk_mul_f32 v[26:27], v[80:81], s[42:43] op_sel:[1,0] op_sel_hi:[0,0]
	v_accvgpr_write_b32 a114, v84
	v_mov_b32_e32 v25, v85
	v_pk_fma_f32 v[84:85], v[82:83], s[34:35], v[26:27] op_sel_hi:[1,0,1]
	v_pk_fma_f32 v[88:89], v[82:83], s[34:35], v[26:27] op_sel_hi:[1,0,1] neg_lo:[0,0,1] neg_hi:[0,0,1]
	v_pk_add_f32 v[24:25], v[28:29], v[24:25]
	v_mov_b32_e32 v26, v84
	v_mov_b32_e32 v27, v89
	v_pk_add_f32 v[24:25], v[26:27], v[24:25]
	v_pk_mul_f32 v[26:27], v[92:93], s[38:39] op_sel:[1,0] op_sel_hi:[0,0]
	v_accvgpr_write_b32 a101, v85
	v_accvgpr_write_b32 a118, v88
	v_pk_fma_f32 v[84:85], v[96:97], s[22:23], v[26:27] op_sel_hi:[1,0,1]
	v_pk_fma_f32 v[88:89], v[96:97], s[22:23], v[26:27] op_sel_hi:[1,0,1] neg_lo:[0,0,1] neg_hi:[0,0,1]
	v_mov_b32_e32 v26, v84
	v_mov_b32_e32 v27, v89
	v_pk_add_f32 v[24:25], v[26:27], v[24:25]
	v_pk_mul_f32 v[26:27], v[94:95], s[16:17] op_sel:[1,0] op_sel_hi:[0,0]
	v_accvgpr_write_b32 a103, v85
	v_accvgpr_write_b32 a120, v88
	v_pk_fma_f32 v[84:85], v[98:99], s[6:7], v[26:27] op_sel_hi:[1,0,1]
	v_pk_fma_f32 v[88:89], v[98:99], s[6:7], v[26:27] op_sel_hi:[1,0,1] neg_lo:[0,0,1] neg_hi:[0,0,1]
	;; [unrolled: 8-line block ×4, first 2 shown]
	v_mov_b32_e32 v26, v84
	v_mov_b32_e32 v27, v89
	v_pk_add_f32 v[24:25], v[26:27], v[24:25]
	v_accvgpr_write_b32 a115, v85
	v_accvgpr_write_b32 a69, v25
	;; [unrolled: 1-line block ×3, first 2 shown]
	v_pk_mul_f32 v[24:25], v[74:75], s[42:43] op_sel:[1,0] op_sel_hi:[0,0]
	v_pk_fma_f32 v[26:27], v[34:35], s[34:35], v[24:25] op_sel_hi:[1,0,1]
	v_pk_fma_f32 v[214:215], v[34:35], s[34:35], v[24:25] op_sel_hi:[1,0,1] neg_lo:[0,0,1] neg_hi:[0,0,1]
	v_accvgpr_write_b32 a119, v27
	v_mov_b32_e32 v24, v26
	v_pk_mul_f32 v[26:27], v[80:81], s[16:17] op_sel:[1,0] op_sel_hi:[0,0]
	v_mov_b32_e32 v25, v215
	v_pk_fma_f32 v[84:85], v[82:83], s[6:7], v[26:27] op_sel_hi:[1,0,1]
	v_pk_fma_f32 v[218:219], v[82:83], s[6:7], v[26:27] op_sel_hi:[1,0,1] neg_lo:[0,0,1] neg_hi:[0,0,1]
	v_pk_add_f32 v[24:25], v[28:29], v[24:25]
	v_mov_b32_e32 v26, v84
	v_mov_b32_e32 v27, v219
	v_pk_add_f32 v[24:25], v[26:27], v[24:25]
	v_pk_mul_f32 v[26:27], v[92:93], s[40:41] op_sel:[1,0] op_sel_hi:[0,0]
	v_accvgpr_write_b32 a121, v85
	v_pk_fma_f32 v[84:85], v[96:97], s[30:31], v[26:27] op_sel_hi:[1,0,1]
	v_pk_fma_f32 v[222:223], v[96:97], s[30:31], v[26:27] op_sel_hi:[1,0,1] neg_lo:[0,0,1] neg_hi:[0,0,1]
	v_mov_b32_e32 v26, v84
	v_mov_b32_e32 v27, v223
	v_pk_add_f32 v[24:25], v[26:27], v[24:25]
	v_pk_mul_f32 v[26:27], v[94:95], s[36:37] op_sel:[1,0] op_sel_hi:[0,0]
	v_accvgpr_write_b32 a123, v85
	v_pk_fma_f32 v[84:85], v[98:99], s[18:19], v[26:27] op_sel_hi:[1,0,1]
	v_pk_fma_f32 v[226:227], v[98:99], s[18:19], v[26:27] op_sel_hi:[1,0,1] neg_lo:[0,0,1] neg_hi:[0,0,1]
	;; [unrolled: 7-line block ×4, first 2 shown]
	v_mov_b32_e32 v26, v84
	v_mov_b32_e32 v27, v235
	v_pk_add_f32 v[26:27], v[26:27], v[24:25]
	v_accvgpr_write_b32 a91, v75
	v_pk_mul_f32 v[24:25], v[74:75], s[38:39] op_sel:[1,0] op_sel_hi:[0,0]
	v_accvgpr_write_b32 a129, v85
	v_accvgpr_write_b32 a90, v74
	v_pk_fma_f32 v[74:75], v[34:35], s[22:23], v[24:25] op_sel_hi:[1,0,1]
	v_pk_fma_f32 v[240:241], v[34:35], s[22:23], v[24:25] op_sel_hi:[1,0,1] neg_lo:[0,0,1] neg_hi:[0,0,1]
	v_pk_mul_f32 v[84:85], v[80:81], s[40:41] op_sel:[1,0] op_sel_hi:[0,0]
	v_accvgpr_write_b32 a131, v75
	v_mov_b32_e32 v24, v74
	v_mov_b32_e32 v25, v241
	v_pk_fma_f32 v[74:75], v[82:83], s[30:31], v[84:85] op_sel_hi:[1,0,1]
	v_pk_fma_f32 v[246:247], v[82:83], s[30:31], v[84:85] op_sel_hi:[1,0,1] neg_lo:[0,0,1] neg_hi:[0,0,1]
	v_pk_add_f32 v[24:25], v[28:29], v[24:25]
	v_mov_b32_e32 v84, v74
	v_mov_b32_e32 v85, v247
	v_pk_add_f32 v[24:25], v[84:85], v[24:25]
	v_pk_mul_f32 v[84:85], v[92:93], s[50:51] op_sel:[1,0] op_sel_hi:[0,0]
	v_accvgpr_write_b32 a133, v75
	v_pk_fma_f32 v[74:75], v[96:97], s[6:7], v[84:85] op_sel_hi:[1,0,1]
	v_pk_fma_f32 v[250:251], v[96:97], s[6:7], v[84:85] op_sel_hi:[1,0,1] neg_lo:[0,0,1] neg_hi:[0,0,1]
	v_mov_b32_e32 v84, v74
	v_mov_b32_e32 v85, v251
	v_pk_add_f32 v[24:25], v[84:85], v[24:25]
	v_pk_mul_f32 v[84:85], v[94:95], s[28:29] op_sel:[1,0] op_sel_hi:[0,0]
	v_accvgpr_write_b32 a135, v75
	v_pk_fma_f32 v[74:75], v[98:99], s[24:25], v[84:85] op_sel_hi:[1,0,1]
	v_pk_fma_f32 v[254:255], v[98:99], s[24:25], v[84:85] op_sel_hi:[1,0,1] neg_lo:[0,0,1] neg_hi:[0,0,1]
	v_mov_b32_e32 v84, v74
	v_mov_b32_e32 v85, v255
	v_pk_add_f32 v[24:25], v[84:85], v[24:25]
	v_pk_mul_f32 v[84:85], v[104:105], s[42:43] op_sel:[1,0] op_sel_hi:[0,0]
	v_accvgpr_write_b32 a126, v88
	v_accvgpr_write_b32 a137, v75
	v_pk_fma_f32 v[74:75], v[102:103], s[34:35], v[84:85] op_sel_hi:[1,0,1]
	v_pk_fma_f32 v[88:89], v[102:103], s[34:35], v[84:85] op_sel_hi:[1,0,1] neg_lo:[0,0,1] neg_hi:[0,0,1]
	v_mov_b32_e32 v84, v74
	v_mov_b32_e32 v85, v89
	v_pk_add_f32 v[24:25], v[84:85], v[24:25]
	v_pk_mul_f32 v[84:85], v[106:107], s[20:21] op_sel:[1,0] op_sel_hi:[0,0]
	v_accvgpr_write_b32 a139, v75
	v_pk_fma_f32 v[74:75], v[112:113], s[18:19], v[84:85] op_sel_hi:[1,0,1]
	v_pk_fma_f32 v[114:115], v[112:113], s[18:19], v[84:85] op_sel_hi:[1,0,1] neg_lo:[0,0,1] neg_hi:[0,0,1]
	v_mov_b32_e32 v84, v74
	v_mov_b32_e32 v85, v115
	v_pk_add_f32 v[24:25], v[84:85], v[24:25]
	v_pk_mul_f32 v[84:85], v[106:107], s[46:47] op_sel:[1,0] op_sel_hi:[0,0]
	v_pk_fma_f32 v[90:91], v[112:113], s[34:35], v[84:85] op_sel_hi:[1,0,1]
	v_pk_fma_f32 v[84:85], v[112:113], s[34:35], v[84:85] op_sel_hi:[1,0,1] neg_lo:[0,0,1] neg_hi:[0,0,1]
	v_accvgpr_write_b32 a73, v27
	v_accvgpr_write_b32 a141, v91
	v_mov_b32_e32 v91, v85
	v_accvgpr_write_b32 a72, v26
	v_accvgpr_write_b32 a71, v25
	;; [unrolled: 1-line block ×3, first 2 shown]
	v_pk_add_f32 v[24:25], v[90:91], v[30:31]
	v_mov_b32_e32 v90, v86
	v_mov_b32_e32 v91, v73
	v_pk_add_f32 v[90:91], v[28:29], v[90:91]
	v_mov_b32_e32 v89, v101
	v_mov_b32_e32 v101, v77
	v_accvgpr_write_b32 a75, v25
	v_pk_add_f32 v[90:91], v[100:101], v[90:91]
	v_pk_mul_f32 v[100:101], v[92:93], s[42:43] op_sel:[1,0] op_sel_hi:[0,0]
	v_accvgpr_write_b32 a74, v24
	v_pk_fma_f32 v[24:25], v[96:97], s[34:35], v[100:101] op_sel_hi:[1,0,1]
	v_pk_fma_f32 v[122:123], v[96:97], s[34:35], v[100:101] op_sel_hi:[1,0,1] neg_lo:[0,0,1] neg_hi:[0,0,1]
	v_mov_b32_e32 v100, v24
	v_mov_b32_e32 v101, v123
	v_pk_add_f32 v[90:91], v[100:101], v[90:91]
	v_pk_mul_f32 v[100:101], v[94:95], s[48:49] op_sel:[1,0] op_sel_hi:[0,0]
	v_accvgpr_write_b32 a145, v25
	v_pk_fma_f32 v[24:25], v[98:99], s[30:31], v[100:101] op_sel_hi:[1,0,1]
	v_pk_fma_f32 v[132:133], v[98:99], s[30:31], v[100:101] op_sel_hi:[1,0,1] neg_lo:[0,0,1] neg_hi:[0,0,1]
	v_mov_b32_e32 v100, v24
	v_mov_b32_e32 v101, v133
	;; [unrolled: 7-line block ×4, first 2 shown]
	v_accvgpr_write_b32 a151, v25
	v_pk_add_f32 v[24:25], v[100:101], v[90:91]
	v_mov_b32_e32 v90, v3
	v_pk_mul_f32 v[90:91], v[48:49], v[90:91] op_sel_hi:[1,0]
	v_pk_add_f32 v[100:101], v[206:207], v[242:243]
	v_pk_fma_f32 v[108:109], v[48:49], v[2:3], v[90:91] op_sel:[0,0,1] op_sel_hi:[1,1,0] neg_lo:[0,0,1] neg_hi:[0,0,1]
	v_pk_fma_f32 v[48:49], v[48:49], v[2:3], v[90:91] op_sel:[0,0,1] op_sel_hi:[1,0,0]
	v_pk_add_f32 v[100:101], v[100:101], v[236:237]
	v_mov_b32_e32 v109, v49
	v_pk_mul_f32 v[48:49], v[50:51], v[4:5] op_sel:[0,1]
	v_pk_add_f32 v[100:101], v[100:101], v[108:109]
	v_pk_fma_f32 v[118:119], v[50:51], v[4:5], v[48:49] op_sel:[0,0,1] op_sel_hi:[1,1,0] neg_lo:[0,0,1] neg_hi:[0,0,1]
	v_pk_fma_f32 v[48:49], v[50:51], v[4:5], v[48:49] op_sel:[0,0,1] op_sel_hi:[1,0,0]
	s_mov_b32 s25, s44
	v_mov_b32_e32 v48, v7
	v_mov_b32_e32 v119, v49
	v_pk_mul_f32 v[48:49], v[44:45], v[48:49] op_sel_hi:[1,0]
	v_pk_add_f32 v[100:101], v[100:101], v[118:119]
	v_pk_fma_f32 v[50:51], v[44:45], v[6:7], v[48:49] op_sel:[0,0,1] op_sel_hi:[1,1,0] neg_lo:[0,0,1] neg_hi:[0,0,1]
	v_pk_fma_f32 v[44:45], v[44:45], v[6:7], v[48:49] op_sel:[0,0,1] op_sel_hi:[1,0,0]
	s_mov_b32 s45, s24
	v_mov_b32_e32 v51, v45
	v_pk_mul_f32 v[44:45], v[46:47], v[8:9] op_sel:[0,1]
	v_pk_add_f32 v[100:101], v[100:101], v[50:51]
	v_pk_fma_f32 v[48:49], v[46:47], v[8:9], v[44:45] op_sel:[0,0,1] op_sel_hi:[1,1,0] neg_lo:[0,0,1] neg_hi:[0,0,1]
	v_pk_fma_f32 v[44:45], v[46:47], v[8:9], v[44:45] op_sel:[0,0,1] op_sel_hi:[1,0,0]
	s_mov_b32 s35, s42
	v_mov_b32_e32 v44, v11
	v_mov_b32_e32 v49, v45
	v_pk_mul_f32 v[44:45], v[40:41], v[44:45] op_sel_hi:[1,0]
	v_pk_add_f32 v[100:101], v[100:101], v[48:49]
	v_pk_fma_f32 v[46:47], v[40:41], v[10:11], v[44:45] op_sel:[0,0,1] op_sel_hi:[1,1,0] neg_lo:[0,0,1] neg_hi:[0,0,1]
	v_pk_fma_f32 v[40:41], v[40:41], v[10:11], v[44:45] op_sel:[0,0,1] op_sel_hi:[1,0,0]
	s_mov_b32 s43, s34
	v_mov_b32_e32 v47, v41
	v_pk_mul_f32 v[40:41], v[42:43], v[20:21] op_sel:[0,1]
	v_pk_add_f32 v[100:101], v[100:101], v[46:47]
	v_pk_fma_f32 v[124:125], v[42:43], v[20:21], v[40:41] op_sel:[0,0,1] op_sel_hi:[1,1,0] neg_lo:[0,0,1] neg_hi:[0,0,1]
	v_pk_fma_f32 v[40:41], v[42:43], v[20:21], v[40:41] op_sel:[0,0,1] op_sel_hi:[1,0,0]
	v_pk_add_f32 v[252:253], v[118:119], v[46:47]
	v_mov_b32_e32 v40, v23
	v_mov_b32_e32 v125, v41
	v_pk_mul_f32 v[40:41], v[36:37], v[40:41] op_sel_hi:[1,0]
	v_pk_add_f32 v[100:101], v[100:101], v[124:125]
	v_pk_fma_f32 v[42:43], v[36:37], v[22:23], v[40:41] op_sel:[0,0,1] op_sel_hi:[1,0,0] neg_lo:[0,0,1] neg_hi:[0,0,1]
	v_pk_fma_f32 v[40:41], v[36:37], v[22:23], v[40:41] op_sel:[0,0,1] op_sel_hi:[1,0,0]
	v_pk_mul_f32 v[36:37], v[38:39], v[16:17] op_sel:[0,1]
	v_mov_b32_e32 v43, v41
	v_pk_fma_f32 v[90:91], v[38:39], v[16:17], v[36:37] op_sel:[0,0,1] op_sel_hi:[1,0,0] neg_lo:[0,0,1] neg_hi:[0,0,1]
	v_pk_fma_f32 v[38:39], v[38:39], v[16:17], v[36:37] op_sel:[0,0,1] op_sel_hi:[1,0,0]
	v_mov_b32_e32 v36, v19
	v_pk_mul_f32 v[36:37], v[210:211], v[36:37] op_sel_hi:[1,0]
	v_mov_b32_e32 v91, v39
	v_pk_fma_f32 v[44:45], v[210:211], v[18:19], v[36:37] op_sel:[0,0,1] op_sel_hi:[1,0,0] neg_lo:[0,0,1] neg_hi:[0,0,1]
	v_pk_fma_f32 v[36:37], v[210:211], v[18:19], v[36:37] op_sel:[0,0,1] op_sel_hi:[1,0,0]
	v_pk_add_f32 v[100:101], v[100:101], v[42:43]
	v_mov_b32_e32 v45, v37
	v_pk_add_f32 v[100:101], v[100:101], v[90:91]
	v_add_f32_e32 v232, v71, v44
	v_sub_f32_e32 v233, v71, v44
	v_pk_add_f32 v[100:101], v[100:101], v[44:45]
	v_add_f32_e32 v45, v69, v37
	v_sub_f32_e32 v44, v69, v37
	v_pk_mul_f32 v[220:221], v[232:233], s[24:25]
	v_add_f32_e32 v244, v242, v90
	v_add_f32_e32 v37, v243, v39
	v_sub_f32_e32 v245, v242, v90
	v_sub_f32_e32 v36, v243, v39
	v_add_f32_e32 v39, v237, v41
	v_sub_f32_e32 v38, v237, v41
	v_pk_fma_f32 v[40:41], v[44:45], s[44:45], v[220:221] neg_lo:[1,0,0] neg_hi:[1,0,0]
	v_pk_fma_f32 v[216:217], v[44:45], s[44:45], v[220:221]
	v_add_f32_e32 v238, v236, v42
	v_sub_f32_e32 v239, v236, v42
	v_mov_b32_e32 v41, v217
	v_pk_mul_f32 v[42:43], v[244:245], s[34:35]
	v_pk_add_f32 v[90:91], v[108:109], v[124:125]
	v_pk_add_f32 v[108:109], v[108:109], v[124:125] neg_lo:[0,1] neg_hi:[0,1]
	v_pk_add_f32 v[118:119], v[118:119], v[46:47] neg_lo:[0,1] neg_hi:[0,1]
	v_pk_add_f32 v[248:249], v[50:51], v[48:49]
	v_pk_add_f32 v[124:125], v[50:51], v[48:49] neg_lo:[0,1] neg_hi:[0,1]
	v_pk_add_f32 v[46:47], v[32:33], v[40:41]
	v_pk_fma_f32 v[48:49], v[36:37], s[42:43], v[42:43] neg_lo:[1,0,0] neg_hi:[1,0,0]
	v_pk_fma_f32 v[40:41], v[36:37], s[42:43], v[42:43]
	s_mov_b32 s23, s38
	v_mov_b32_e32 v49, v41
	v_pk_add_f32 v[50:51], v[48:49], v[46:47]
	s_mov_b32 s39, s22
	v_pk_mul_f32 v[48:49], v[238:239], s[22:23]
	s_mov_b32 s7, s16
	v_pk_fma_f32 v[134:135], v[38:39], s[38:39], v[48:49] neg_lo:[1,0,0] neg_hi:[1,0,0]
	v_pk_fma_f32 v[46:47], v[38:39], s[38:39], v[48:49]
	s_mov_b32 s17, s6
	v_mov_b32_e32 v135, v47
	v_pk_add_f32 v[134:135], v[134:135], v[50:51]
	v_mov_b32_e32 v51, v91
	v_mov_b32_e32 v91, v108
	;; [unrolled: 1-line block ×3, first 2 shown]
	v_pk_mul_f32 v[210:211], v[90:91], s[6:7]
	v_mov_b32_e32 v237, v253
	v_pk_fma_f32 v[108:109], v[50:51], s[16:17], v[210:211] neg_lo:[1,0,0] neg_hi:[1,0,0]
	v_pk_fma_f32 v[206:207], v[50:51], s[16:17], v[210:211]
	v_mov_b32_e32 v253, v118
	v_mov_b32_e32 v109, v207
	s_mov_b32 s19, s20
	v_pk_add_f32 v[108:109], v[108:109], v[134:135]
	v_mov_b32_e32 v236, v119
	s_mov_b32 s21, s18
	v_pk_mul_f32 v[134:135], v[252:253], s[18:19]
	v_accvgpr_write_b32 a153, v25
	v_pk_fma_f32 v[118:119], v[236:237], s[20:21], v[134:135] neg_lo:[1,0,0] neg_hi:[1,0,0]
	v_pk_fma_f32 v[242:243], v[236:237], s[20:21], v[134:135]
	v_mov_b32_e32 v213, v249
	v_mov_b32_e32 v249, v124
	s_mov_b32 s31, s40
	v_accvgpr_write_b32 a152, v24
	v_lshrrev_b32_e32 v24, 2, v68
	v_mov_b32_e32 v119, v243
	v_mov_b32_e32 v212, v125
	s_mov_b32 s41, s30
	v_pk_mul_f32 v[228:229], v[248:249], s[30:31]
	v_mul_u32_u24_e32 v24, 52, v24
	v_pk_add_f32 v[108:109], v[118:119], v[108:109]
	v_pk_fma_f32 v[118:119], v[212:213], s[40:41], v[228:229] neg_lo:[1,0,0] neg_hi:[1,0,0]
	v_pk_fma_f32 v[224:225], v[212:213], s[40:41], v[228:229]
	v_or_b32_e32 v24, v24, v70
	v_mov_b32_e32 v119, v225
	v_lshlrev_b32_e32 v137, 3, v24
	v_pk_add_f32 v[108:109], v[118:119], v[108:109]
	v_pk_mul_f32 v[184:185], v[232:233], s[34:35]
	ds_write2_b64 v137, v[100:101], v[108:109] offset1:4
	v_pk_fma_f32 v[100:101], v[44:45], s[42:43], v[184:185] neg_lo:[1,0,0] neg_hi:[1,0,0]
	v_pk_fma_f32 v[198:199], v[44:45], s[42:43], v[184:185]
	v_pk_mul_f32 v[190:191], v[244:245], s[6:7]
	v_mov_b32_e32 v101, v199
	v_pk_fma_f32 v[118:119], v[36:37], s[16:17], v[190:191] neg_lo:[1,0,0] neg_hi:[1,0,0]
	v_pk_fma_f32 v[108:109], v[36:37], s[16:17], v[190:191]
	v_pk_add_f32 v[100:101], v[32:33], v[100:101]
	v_mov_b32_e32 v119, v109
	v_pk_mul_f32 v[124:125], v[238:239], s[30:31]
	v_pk_add_f32 v[100:101], v[118:119], v[100:101]
	v_pk_fma_f32 v[138:139], v[38:39], s[40:41], v[124:125] neg_lo:[1,0,0] neg_hi:[1,0,0]
	v_pk_fma_f32 v[118:119], v[38:39], s[40:41], v[124:125]
	s_mov_b32 s37, s18
	v_mov_b32_e32 v139, v119
	v_pk_add_f32 v[140:141], v[138:139], v[100:101]
	v_pk_mul_f32 v[138:139], v[90:91], s[54:55]
	s_mov_b32 s27, s22
	v_pk_fma_f32 v[142:143], v[50:51], s[36:37], v[138:139] neg_lo:[1,0,0] neg_hi:[1,0,0]
	v_pk_fma_f32 v[100:101], v[50:51], s[36:37], v[138:139]
	s_mov_b32 s25, s28
	v_mov_b32_e32 v143, v101
	v_pk_add_f32 v[144:145], v[142:143], v[140:141]
	v_pk_mul_f32 v[142:143], v[252:253], s[52:53]
	s_mov_b32 s29, s24
	v_pk_fma_f32 v[146:147], v[236:237], s[26:27], v[142:143] neg_lo:[1,0,0] neg_hi:[1,0,0]
	v_pk_fma_f32 v[140:141], v[236:237], s[26:27], v[142:143]
	v_pk_mul_f32 v[154:155], v[232:233], s[22:23]
	v_mov_b32_e32 v147, v141
	v_pk_add_f32 v[148:149], v[146:147], v[144:145]
	v_pk_mul_f32 v[146:147], v[248:249], s[24:25]
	v_pk_fma_f32 v[152:153], v[44:45], s[38:39], v[154:155]
	v_pk_fma_f32 v[150:151], v[212:213], s[28:29], v[146:147] neg_lo:[1,0,0] neg_hi:[1,0,0]
	v_pk_fma_f32 v[144:145], v[212:213], s[28:29], v[146:147]
	s_mov_b32 s51, s6
	v_mov_b32_e32 v151, v145
	v_pk_add_f32 v[176:177], v[150:151], v[148:149]
	v_pk_fma_f32 v[148:149], v[44:45], s[38:39], v[154:155] neg_lo:[1,0,0] neg_hi:[1,0,0]
	v_pk_mul_f32 v[150:151], v[244:245], s[30:31]
	v_mov_b32_e32 v149, v153
	v_pk_add_f32 v[156:157], v[32:33], v[148:149]
	v_pk_fma_f32 v[158:159], v[36:37], s[40:41], v[150:151] neg_lo:[1,0,0] neg_hi:[1,0,0]
	v_pk_fma_f32 v[148:149], v[36:37], s[40:41], v[150:151]
	v_pk_mul_f32 v[70:71], v[244:245], s[54:55]
	v_mov_b32_e32 v159, v149
	v_pk_add_f32 v[160:161], v[158:159], v[156:157]
	v_pk_mul_f32 v[158:159], v[238:239], s[56:57]
	v_pk_fma_f32 v[68:69], v[36:37], s[36:37], v[70:71] neg_lo:[1,0,0] neg_hi:[1,0,0]
	v_pk_fma_f32 v[164:165], v[38:39], s[50:51], v[158:159] neg_lo:[1,0,0] neg_hi:[1,0,0]
	v_pk_fma_f32 v[156:157], v[38:39], s[50:51], v[158:159]
	v_pk_fma_f32 v[170:171], v[36:37], s[36:37], v[70:71]
	v_mov_b32_e32 v165, v157
	v_pk_add_f32 v[166:167], v[164:165], v[160:161]
	v_pk_mul_f32 v[164:165], v[90:91], s[24:25]
	v_mov_b32_e32 v69, v171
	v_pk_fma_f32 v[168:169], v[50:51], s[28:29], v[164:165] neg_lo:[1,0,0] neg_hi:[1,0,0]
	v_pk_fma_f32 v[160:161], v[50:51], s[28:29], v[164:165]
	v_accvgpr_write_b32 a97, v81
	v_mov_b32_e32 v169, v161
	v_pk_add_f32 v[172:173], v[168:169], v[166:167]
	v_pk_mul_f32 v[168:169], v[252:253], s[34:35]
	v_accvgpr_write_b32 a96, v80
	v_pk_fma_f32 v[174:175], v[236:237], s[42:43], v[168:169] neg_lo:[1,0,0] neg_hi:[1,0,0]
	v_pk_fma_f32 v[166:167], v[236:237], s[42:43], v[168:169]
	v_mov_b32_e32 v85, v87
	v_mov_b32_e32 v175, v167
	v_pk_add_f32 v[178:179], v[174:175], v[172:173]
	v_pk_mul_f32 v[174:175], v[248:249], s[18:19]
	s_mov_b32 s54, s30
	v_pk_fma_f32 v[172:173], v[212:213], s[20:21], v[174:175] neg_lo:[1,0,0] neg_hi:[1,0,0]
	v_pk_fma_f32 v[180:181], v[212:213], s[20:21], v[174:175]
	s_mov_b32 s55, s48
	v_mov_b32_e32 v173, v181
	v_pk_add_f32 v[172:173], v[172:173], v[178:179]
	ds_write2_b64 v137, v[176:177], v[172:173] offset0:8 offset1:12
	v_pk_mul_f32 v[172:173], v[232:233], s[6:7]
	v_accvgpr_write_b32 a109, v93
	v_pk_fma_f32 v[176:177], v[44:45], s[16:17], v[172:173] neg_lo:[1,0,0] neg_hi:[1,0,0]
	v_pk_fma_f32 v[178:179], v[44:45], s[16:17], v[172:173]
	s_mov_b32 s49, s30
	v_mov_b32_e32 v177, v179
	v_pk_add_f32 v[176:177], v[32:33], v[176:177]
	v_accvgpr_write_b32 a108, v92
	v_pk_add_f32 v[68:69], v[68:69], v[176:177]
	v_pk_mul_f32 v[176:177], v[238:239], s[24:25]
	s_mov_b32 s56, s34
	v_pk_fma_f32 v[80:81], v[38:39], s[28:29], v[176:177] neg_lo:[1,0,0] neg_hi:[1,0,0]
	v_pk_fma_f32 v[24:25], v[38:39], s[28:29], v[176:177]
	s_mov_b32 s57, s46
	v_mov_b32_e32 v81, v25
	v_pk_add_f32 v[26:27], v[80:81], v[68:69]
	v_pk_mul_f32 v[68:69], v[90:91], s[22:23]
	v_accvgpr_write_b32 a111, v95
	v_pk_fma_f32 v[80:81], v[50:51], s[38:39], v[68:69] neg_lo:[1,0,0] neg_hi:[1,0,0]
	v_pk_fma_f32 v[86:87], v[50:51], s[38:39], v[68:69]
	s_mov_b32 s47, s34
	v_mov_b32_e32 v81, v87
	v_pk_add_f32 v[26:27], v[80:81], v[26:27]
	v_pk_mul_f32 v[80:81], v[252:253], s[54:55]
	v_accvgpr_write_b32 a110, v94
	v_pk_fma_f32 v[162:163], v[236:237], s[48:49], v[80:81] neg_lo:[1,0,0] neg_hi:[1,0,0]
	v_pk_fma_f32 v[92:93], v[236:237], s[48:49], v[80:81]
	v_pk_mul_f32 v[116:117], v[244:245], s[52:53]
	v_mov_b32_e32 v163, v93
	v_pk_add_f32 v[26:27], v[162:163], v[26:27]
	v_pk_mul_f32 v[162:163], v[248:249], s[56:57]
	v_pk_fma_f32 v[120:121], v[36:37], s[26:27], v[116:117] neg_lo:[1,0,0] neg_hi:[1,0,0]
	v_pk_fma_f32 v[94:95], v[212:213], s[46:47], v[162:163] neg_lo:[1,0,0] neg_hi:[1,0,0]
	v_pk_fma_f32 v[104:105], v[212:213], s[46:47], v[162:163]
	v_pk_fma_f32 v[30:31], v[36:37], s[26:27], v[116:117]
	v_mov_b32_e32 v95, v105
	v_pk_add_f32 v[26:27], v[94:95], v[26:27]
	v_pk_mul_f32 v[94:95], v[232:233], s[18:19]
	v_mov_b32_e32 v121, v31
	v_pk_fma_f32 v[106:107], v[44:45], s[20:21], v[94:95] neg_lo:[1,0,0] neg_hi:[1,0,0]
	v_pk_fma_f32 v[110:111], v[44:45], s[20:21], v[94:95]
	v_accvgpr_write_b32 a98, v72
	v_mov_b32_e32 v107, v111
	v_pk_add_f32 v[106:107], v[32:33], v[106:107]
	v_accvgpr_write_b32 a143, v75
	v_pk_add_f32 v[106:107], v[120:121], v[106:107]
	v_pk_mul_f32 v[120:121], v[238:239], s[34:35]
	v_pk_mul_f32 v[238:239], v[238:239], s[18:19]
	v_pk_fma_f32 v[126:127], v[38:39], s[42:43], v[120:121] neg_lo:[1,0,0] neg_hi:[1,0,0]
	v_pk_fma_f32 v[128:129], v[38:39], s[42:43], v[120:121]
	v_pk_fma_f32 v[208:209], v[38:39], s[20:21], v[238:239]
	v_mov_b32_e32 v127, v129
	v_pk_add_f32 v[106:107], v[126:127], v[106:107]
	v_pk_mul_f32 v[126:127], v[90:91], s[54:55]
	v_pk_mul_f32 v[90:91], v[90:91], s[56:57]
	v_pk_fma_f32 v[130:131], v[50:51], s[48:49], v[126:127] neg_lo:[1,0,0] neg_hi:[1,0,0]
	v_pk_fma_f32 v[186:187], v[50:51], s[48:49], v[126:127]
	v_pk_fma_f32 v[72:73], v[50:51], s[46:47], v[90:91]
	v_mov_b32_e32 v131, v187
	v_pk_add_f32 v[106:107], v[130:131], v[106:107]
	v_pk_mul_f32 v[130:131], v[252:253], s[24:25]
	v_accvgpr_write_b32 a100, v76
	v_pk_fma_f32 v[188:189], v[236:237], s[28:29], v[130:131] neg_lo:[1,0,0] neg_hi:[1,0,0]
	v_pk_fma_f32 v[192:193], v[236:237], s[28:29], v[130:131]
	v_pk_fma_f32 v[70:71], v[36:37], s[36:37], v[70:71] neg_lo:[0,0,1] neg_hi:[0,0,1]
	v_mov_b32_e32 v189, v193
	v_pk_add_f32 v[106:107], v[188:189], v[106:107]
	v_pk_mul_f32 v[188:189], v[248:249], s[6:7]
	v_pk_mul_f32 v[248:249], v[248:249], s[52:53]
	v_pk_fma_f32 v[196:197], v[212:213], s[16:17], v[188:189] neg_lo:[1,0,0] neg_hi:[1,0,0]
	v_pk_fma_f32 v[200:201], v[212:213], s[16:17], v[188:189]
	v_pk_fma_f32 v[76:77], v[212:213], s[26:27], v[248:249]
	v_mov_b32_e32 v197, v201
	v_pk_add_f32 v[106:107], v[196:197], v[106:107]
	ds_write2_b64 v137, v[26:27], v[106:107] offset0:16 offset1:20
	v_pk_mul_f32 v[26:27], v[232:233], s[30:31]
	v_pk_mul_f32 v[232:233], v[244:245], s[24:25]
	v_pk_fma_f32 v[106:107], v[44:45], s[40:41], v[26:27] neg_lo:[1,0,0] neg_hi:[1,0,0]
	v_pk_fma_f32 v[196:197], v[44:45], s[40:41], v[26:27]
	v_pk_fma_f32 v[244:245], v[36:37], s[28:29], v[232:233] neg_lo:[1,0,0] neg_hi:[1,0,0]
	v_mov_b32_e32 v107, v197
	v_pk_fma_f32 v[204:205], v[36:37], s[28:29], v[232:233]
	v_pk_add_f32 v[106:107], v[32:33], v[106:107]
	v_mov_b32_e32 v245, v205
	v_pk_add_f32 v[106:107], v[244:245], v[106:107]
	v_pk_fma_f32 v[244:245], v[38:39], s[20:21], v[238:239] neg_lo:[1,0,0] neg_hi:[1,0,0]
	v_pk_fma_f32 v[26:27], v[44:45], s[40:41], v[26:27] neg_lo:[0,0,1] neg_hi:[0,0,1]
	v_mov_b32_e32 v245, v209
	v_mov_b32_e32 v197, v27
	v_pk_add_f32 v[106:107], v[244:245], v[106:107]
	v_pk_fma_f32 v[244:245], v[50:51], s[46:47], v[90:91] neg_lo:[1,0,0] neg_hi:[1,0,0]
	v_pk_add_f32 v[26:27], v[32:33], v[196:197]
	v_pk_fma_f32 v[196:197], v[36:37], s[28:29], v[232:233] neg_lo:[0,0,1] neg_hi:[0,0,1]
	v_mov_b32_e32 v245, v73
	v_mov_b32_e32 v205, v197
	v_pk_fma_f32 v[196:197], v[38:39], s[20:21], v[238:239] neg_lo:[0,0,1] neg_hi:[0,0,1]
	v_pk_add_f32 v[106:107], v[244:245], v[106:107]
	v_pk_mul_f32 v[244:245], v[252:253], s[6:7]
	v_pk_add_f32 v[26:27], v[204:205], v[26:27]
	v_mov_b32_e32 v209, v197
	v_pk_fma_f32 v[90:91], v[50:51], s[46:47], v[90:91] neg_lo:[0,0,1] neg_hi:[0,0,1]
	v_pk_fma_f32 v[252:253], v[236:237], s[16:17], v[244:245] neg_lo:[1,0,0] neg_hi:[1,0,0]
	v_pk_fma_f32 v[74:75], v[236:237], s[16:17], v[244:245]
	v_pk_add_f32 v[26:27], v[208:209], v[26:27]
	v_mov_b32_e32 v73, v91
	v_mov_b32_e32 v253, v75
	v_pk_add_f32 v[26:27], v[72:73], v[26:27]
	v_pk_fma_f32 v[72:73], v[236:237], s[16:17], v[244:245] neg_lo:[0,0,1] neg_hi:[0,0,1]
	v_pk_add_f32 v[106:107], v[252:253], v[106:107]
	v_pk_fma_f32 v[252:253], v[212:213], s[26:27], v[248:249] neg_lo:[1,0,0] neg_hi:[1,0,0]
	v_mov_b32_e32 v75, v73
	v_pk_fma_f32 v[72:73], v[212:213], s[26:27], v[248:249] neg_lo:[0,0,1] neg_hi:[0,0,1]
	v_mov_b32_e32 v253, v77
	v_pk_add_f32 v[26:27], v[74:75], v[26:27]
	v_mov_b32_e32 v77, v73
	v_pk_add_f32 v[106:107], v[252:253], v[106:107]
	v_pk_add_f32 v[26:27], v[76:77], v[26:27]
	ds_write2_b64 v137, v[106:107], v[26:27] offset0:24 offset1:28
	v_pk_fma_f32 v[26:27], v[44:45], s[20:21], v[94:95] neg_lo:[0,0,1] neg_hi:[0,0,1]
	v_pk_fma_f32 v[72:73], v[36:37], s[26:27], v[116:117] neg_lo:[0,0,1] neg_hi:[0,0,1]
	v_mov_b32_e32 v111, v27
	v_pk_add_f32 v[26:27], v[32:33], v[110:111]
	v_mov_b32_e32 v31, v73
	v_pk_add_f32 v[26:27], v[30:31], v[26:27]
	v_pk_fma_f32 v[30:31], v[38:39], s[42:43], v[120:121] neg_lo:[0,0,1] neg_hi:[0,0,1]
	v_mov_b32_e32 v171, v71
	v_mov_b32_e32 v129, v31
	v_pk_fma_f32 v[30:31], v[50:51], s[48:49], v[126:127] neg_lo:[0,0,1] neg_hi:[0,0,1]
	v_pk_fma_f32 v[70:71], v[38:39], s[28:29], v[176:177] neg_lo:[0,0,1] neg_hi:[0,0,1]
	v_mov_b32_e32 v187, v31
	v_pk_fma_f32 v[30:31], v[236:237], s[28:29], v[130:131] neg_lo:[0,0,1] neg_hi:[0,0,1]
	v_mov_b32_e32 v25, v71
	v_mov_b32_e32 v193, v31
	v_pk_fma_f32 v[30:31], v[212:213], s[16:17], v[188:189] neg_lo:[0,0,1] neg_hi:[0,0,1]
	v_pk_add_f32 v[26:27], v[128:129], v[26:27]
	v_mov_b32_e32 v201, v31
	v_pk_fma_f32 v[30:31], v[44:45], s[16:17], v[172:173] neg_lo:[0,0,1] neg_hi:[0,0,1]
	v_pk_add_f32 v[26:27], v[186:187], v[26:27]
	v_mov_b32_e32 v179, v31
	v_pk_add_f32 v[30:31], v[32:33], v[178:179]
	v_pk_add_f32 v[26:27], v[192:193], v[26:27]
	;; [unrolled: 1-line block ×5, first 2 shown]
	v_pk_fma_f32 v[30:31], v[50:51], s[38:39], v[68:69] neg_lo:[0,0,1] neg_hi:[0,0,1]
	s_nop 0
	v_mov_b32_e32 v87, v31
	v_pk_fma_f32 v[30:31], v[236:237], s[48:49], v[80:81] neg_lo:[0,0,1] neg_hi:[0,0,1]
	v_pk_add_f32 v[24:25], v[86:87], v[24:25]
	v_mov_b32_e32 v93, v31
	v_pk_fma_f32 v[30:31], v[212:213], s[46:47], v[162:163] neg_lo:[0,0,1] neg_hi:[0,0,1]
	v_pk_add_f32 v[24:25], v[92:93], v[24:25]
	v_mov_b32_e32 v105, v31
	v_pk_add_f32 v[24:25], v[104:105], v[24:25]
	ds_write2_b64 v137, v[26:27], v[24:25] offset0:32 offset1:36
	v_pk_fma_f32 v[26:27], v[36:37], s[40:41], v[150:151] neg_lo:[0,0,1] neg_hi:[0,0,1]
	v_pk_fma_f32 v[24:25], v[44:45], s[38:39], v[154:155] neg_lo:[0,0,1] neg_hi:[0,0,1]
	v_mov_b32_e32 v149, v27
	v_pk_fma_f32 v[26:27], v[38:39], s[50:51], v[158:159] neg_lo:[0,0,1] neg_hi:[0,0,1]
	v_mov_b32_e32 v153, v25
	v_mov_b32_e32 v157, v27
	v_pk_fma_f32 v[26:27], v[50:51], s[28:29], v[164:165] neg_lo:[0,0,1] neg_hi:[0,0,1]
	v_pk_fma_f32 v[30:31], v[36:37], s[16:17], v[190:191] neg_lo:[0,0,1] neg_hi:[0,0,1]
	v_mov_b32_e32 v161, v27
	v_pk_fma_f32 v[26:27], v[236:237], s[42:43], v[168:169] neg_lo:[0,0,1] neg_hi:[0,0,1]
	v_pk_add_f32 v[24:25], v[32:33], v[152:153]
	v_mov_b32_e32 v167, v27
	v_pk_fma_f32 v[26:27], v[212:213], s[20:21], v[174:175] neg_lo:[0,0,1] neg_hi:[0,0,1]
	v_mov_b32_e32 v109, v31
	v_mov_b32_e32 v181, v27
	v_pk_fma_f32 v[26:27], v[44:45], s[42:43], v[184:185] neg_lo:[0,0,1] neg_hi:[0,0,1]
	v_pk_fma_f32 v[30:31], v[38:39], s[40:41], v[124:125] neg_lo:[0,0,1] neg_hi:[0,0,1]
	v_mov_b32_e32 v199, v27
	v_pk_add_f32 v[26:27], v[32:33], v[198:199]
	v_pk_add_f32 v[24:25], v[148:149], v[24:25]
	;; [unrolled: 1-line block ×3, first 2 shown]
	v_mov_b32_e32 v119, v31
	v_pk_fma_f32 v[30:31], v[50:51], s[36:37], v[138:139] neg_lo:[0,0,1] neg_hi:[0,0,1]
	v_pk_add_f32 v[24:25], v[156:157], v[24:25]
	v_pk_add_f32 v[26:27], v[118:119], v[26:27]
	v_mov_b32_e32 v101, v31
	v_pk_fma_f32 v[30:31], v[236:237], s[26:27], v[142:143] neg_lo:[0,0,1] neg_hi:[0,0,1]
	v_pk_add_f32 v[24:25], v[160:161], v[24:25]
	v_pk_add_f32 v[26:27], v[100:101], v[26:27]
	;; [unrolled: 4-line block ×3, first 2 shown]
	v_mov_b32_e32 v145, v31
	v_pk_add_f32 v[24:25], v[180:181], v[24:25]
	v_pk_add_f32 v[26:27], v[144:145], v[26:27]
	ds_write2_b64 v137, v[24:25], v[26:27] offset0:40 offset1:44
	v_pk_fma_f32 v[24:25], v[44:45], s[44:45], v[220:221] neg_lo:[0,0,1] neg_hi:[0,0,1]
	v_pk_fma_f32 v[26:27], v[36:37], s[42:43], v[42:43] neg_lo:[0,0,1] neg_hi:[0,0,1]
	v_mov_b32_e32 v217, v25
	v_pk_add_f32 v[24:25], v[32:33], v[216:217]
	v_mov_b32_e32 v41, v27
	v_pk_fma_f32 v[26:27], v[38:39], s[38:39], v[48:49] neg_lo:[0,0,1] neg_hi:[0,0,1]
	v_pk_add_f32 v[24:25], v[40:41], v[24:25]
	v_mov_b32_e32 v47, v27
	v_pk_fma_f32 v[26:27], v[50:51], s[16:17], v[210:211] neg_lo:[0,0,1] neg_hi:[0,0,1]
	;; [unrolled: 3-line block ×4, first 2 shown]
	v_pk_add_f32 v[24:25], v[242:243], v[24:25]
	v_mov_b32_e32 v225, v27
	v_pk_add_f32 v[24:25], v[224:225], v[24:25]
	ds_write_b64 v137, v[24:25] offset:384
	v_accvgpr_read_b32 v24, a82
	v_accvgpr_read_b32 v146, a152
	v_lshrrev_b32_e32 v24, 2, v24
	v_accvgpr_read_b32 v147, a153
	v_accvgpr_write_b32 a82, v24
	s_and_saveexec_b64 s[36:37], s[2:3]
	s_cbranch_execz .LBB0_15
; %bb.14:
	v_accvgpr_read_b32 v42, a82
	v_mul_u32_u24_e32 v42, 52, v42
	v_accvgpr_read_b32 v43, a27
	v_accvgpr_read_b32 v40, a86
	v_or_b32_e32 v42, v42, v43
	v_accvgpr_read_b32 v41, a87
	v_lshlrev_b32_e32 v68, 3, v42
	v_accvgpr_read_b32 v42, a84
	v_pk_add_f32 v[40:41], v[28:29], v[40:41]
	v_accvgpr_read_b32 v43, a85
	v_pk_add_f32 v[40:41], v[40:41], v[42:43]
	v_accvgpr_read_b32 v42, a88
	v_accvgpr_read_b32 v43, a89
	v_pk_add_f32 v[40:41], v[40:41], v[42:43]
	v_accvgpr_read_b32 v42, a114
	v_pk_add_f32 v[40:41], v[40:41], v[78:79]
	;; [unrolled: 2-line block ×3, first 2 shown]
	v_pk_add_f32 v[42:43], v[28:29], v[42:43]
	v_pk_add_f32 v[40:41], v[40:41], v[58:59]
	v_accvgpr_read_b32 v48, a118
	v_pk_add_f32 v[40:41], v[40:41], v[60:61]
	v_accvgpr_read_b32 v49, a101
	v_pk_add_f32 v[40:41], v[40:41], v[62:63]
	v_pk_add_f32 v[42:43], v[48:49], v[42:43]
	v_accvgpr_read_b32 v48, a120
	v_accvgpr_read_b32 v49, a103
	v_pk_add_f32 v[40:41], v[40:41], v[52:53]
	v_pk_add_f32 v[42:43], v[48:49], v[42:43]
	v_accvgpr_read_b32 v48, a122
	;; [unrolled: 4-line block ×5, first 2 shown]
	v_accvgpr_read_b32 v241, a131
	ds_write2_b64 v68, v[40:41], v[42:43] offset1:4
	v_pk_add_f32 v[40:41], v[28:29], v[214:215]
	v_accvgpr_read_b32 v219, a121
	v_pk_add_f32 v[42:43], v[28:29], v[240:241]
	v_accvgpr_read_b32 v247, a133
	;; [unrolled: 2-line block ×6, first 2 shown]
	v_mov_b32_e32 v47, v89
	v_pk_add_f32 v[40:41], v[226:227], v[40:41]
	v_accvgpr_read_b32 v231, a127
	v_pk_add_f32 v[42:43], v[254:255], v[42:43]
	v_accvgpr_read_b32 v89, a139
	;; [unrolled: 2-line block ×4, first 2 shown]
	v_pk_add_f32 v[40:41], v[234:235], v[40:41]
	v_pk_add_f32 v[42:43], v[114:115], v[42:43]
	ds_write2_b64 v68, v[40:41], v[42:43] offset0:8 offset1:12
	v_accvgpr_read_b32 v40, a92
	v_accvgpr_read_b32 v41, a79
	v_pk_add_f32 v[40:41], v[28:29], v[40:41]
	v_accvgpr_read_b32 v42, a94
	v_accvgpr_read_b32 v43, a81
	v_pk_add_f32 v[40:41], v[42:43], v[40:41]
	;; [unrolled: 3-line block ×3, first 2 shown]
	v_accvgpr_read_b32 v42, a104
	v_accvgpr_read_b32 v43, a93
	;; [unrolled: 1-line block ×3, first 2 shown]
	v_mov_b32_e32 v45, v85
	v_pk_add_f32 v[40:41], v[42:43], v[40:41]
	v_accvgpr_read_b32 v42, a106
	v_accvgpr_read_b32 v43, a95
	;; [unrolled: 1-line block ×3, first 2 shown]
	v_pk_add_f32 v[40:41], v[42:43], v[40:41]
	v_pk_add_f32 v[42:43], v[28:29], v[44:45]
	v_accvgpr_read_b32 v123, a145
	v_pk_add_f32 v[42:43], v[46:47], v[42:43]
	v_accvgpr_read_b32 v133, a147
	;; [unrolled: 2-line block ×4, first 2 shown]
	v_accvgpr_read_b32 v25, a90
	v_accvgpr_read_b32 v85, a141
	v_pk_add_f32 v[42:43], v[194:195], v[42:43]
	v_accvgpr_read_b32 v203, a151
	v_accvgpr_read_b32 v26, a97
	;; [unrolled: 1-line block ×3, first 2 shown]
	v_pk_add_f32 v[40:41], v[84:85], v[40:41]
	v_pk_add_f32 v[42:43], v[202:203], v[42:43]
	v_pk_mul_f32 v[24:25], v[24:25], s[40:41] op_sel_hi:[1,0]
	ds_write2_b64 v68, v[40:41], v[42:43] offset0:16 offset1:20
	v_pk_mul_f32 v[26:27], v[26:27], s[28:29] op_sel_hi:[1,0]
	v_pk_fma_f32 v[40:41], v[34:35], s[30:31], v[24:25] op_sel_hi:[1,0,1] neg_lo:[0,0,1] neg_hi:[0,0,1]
	v_pk_fma_f32 v[24:25], v[34:35], s[30:31], v[24:25] op_sel_hi:[1,0,1]
	v_accvgpr_read_b32 v30, a109
	v_accvgpr_read_b32 v31, a108
	v_mov_b32_e32 v34, v40
	v_mov_b32_e32 v35, v25
	v_pk_fma_f32 v[42:43], v[82:83], s[24:25], v[26:27] op_sel_hi:[1,0,1] neg_lo:[0,0,1] neg_hi:[0,0,1]
	v_pk_fma_f32 v[26:27], v[82:83], s[24:25], v[26:27] op_sel_hi:[1,0,1]
	v_pk_mul_f32 v[30:31], v[30:31], s[20:21] op_sel_hi:[1,0]
	v_pk_add_f32 v[34:35], v[28:29], v[34:35]
	v_mov_b32_e32 v44, v42
	v_mov_b32_e32 v45, v27
	v_accvgpr_read_b32 v32, a111
	v_accvgpr_read_b32 v33, a110
	v_pk_add_f32 v[34:35], v[44:45], v[34:35]
	v_pk_fma_f32 v[44:45], v[96:97], s[18:19], v[30:31] op_sel_hi:[1,0,1] neg_lo:[0,0,1] neg_hi:[0,0,1]
	v_pk_fma_f32 v[30:31], v[96:97], s[18:19], v[30:31] op_sel_hi:[1,0,1]
	v_pk_mul_f32 v[32:33], v[32:33], s[46:47] op_sel_hi:[1,0]
	v_mov_b32_e32 v46, v44
	v_mov_b32_e32 v47, v31
	v_accvgpr_read_b32 v36, a113
	v_accvgpr_read_b32 v37, a112
	v_pk_add_f32 v[34:35], v[46:47], v[34:35]
	v_pk_fma_f32 v[46:47], v[98:99], s[34:35], v[32:33] op_sel_hi:[1,0,1] neg_lo:[0,0,1] neg_hi:[0,0,1]
	v_pk_fma_f32 v[32:33], v[98:99], s[34:35], v[32:33] op_sel_hi:[1,0,1]
	v_mov_b32_e32 v25, v41
	v_pk_mul_f32 v[36:37], v[36:37], s[16:17] op_sel_hi:[1,0]
	v_mov_b32_e32 v48, v46
	v_mov_b32_e32 v49, v33
	v_pk_add_f32 v[24:25], v[28:29], v[24:25]
	v_mov_b32_e32 v27, v43
	v_accvgpr_read_b32 v38, a117
	v_accvgpr_read_b32 v39, a116
	v_pk_add_f32 v[34:35], v[48:49], v[34:35]
	v_pk_fma_f32 v[48:49], v[102:103], s[6:7], v[36:37] op_sel_hi:[1,0,1] neg_lo:[0,0,1] neg_hi:[0,0,1]
	v_pk_fma_f32 v[36:37], v[102:103], s[6:7], v[36:37] op_sel_hi:[1,0,1]
	v_pk_add_f32 v[24:25], v[26:27], v[24:25]
	v_mov_b32_e32 v31, v45
	v_pk_mul_f32 v[38:39], v[38:39], s[26:27] op_sel_hi:[1,0]
	v_mov_b32_e32 v50, v48
	v_mov_b32_e32 v51, v37
	v_pk_add_f32 v[24:25], v[30:31], v[24:25]
	v_mov_b32_e32 v33, v47
	v_pk_add_f32 v[34:35], v[50:51], v[34:35]
	v_pk_fma_f32 v[50:51], v[112:113], s[22:23], v[38:39] op_sel_hi:[1,0,1] neg_lo:[0,0,1] neg_hi:[0,0,1]
	v_pk_fma_f32 v[38:39], v[112:113], s[22:23], v[38:39] op_sel_hi:[1,0,1]
	v_pk_add_f32 v[24:25], v[32:33], v[24:25]
	v_mov_b32_e32 v37, v49
	v_mov_b32_e32 v52, v50
	v_mov_b32_e32 v53, v39
	v_pk_add_f32 v[24:25], v[36:37], v[24:25]
	v_mov_b32_e32 v39, v51
	v_pk_add_f32 v[34:35], v[52:53], v[34:35]
	v_pk_add_f32 v[24:25], v[38:39], v[24:25]
	ds_write2_b64 v68, v[34:35], v[24:25] offset0:24 offset1:28
	v_accvgpr_read_b32 v24, a74
	v_accvgpr_read_b32 v25, a75
	ds_write2_b64 v68, v[146:147], v[24:25] offset0:32 offset1:36
	v_accvgpr_read_b32 v24, a70
	v_accvgpr_read_b32 v25, a71
	;; [unrolled: 1-line block ×4, first 2 shown]
	ds_write2_b64 v68, v[24:25], v[26:27] offset0:40 offset1:44
	ds_write_b64 v68, a[68:69] offset:384
.LBB0_15:
	s_or_b64 exec, exec, s[36:37]
	v_accvgpr_read_b32 v134, a26
	v_mad_u64_u32 v[24:25], s[6:7], v134, 48, s[0:1]
	s_waitcnt lgkmcnt(0)
	; wave barrier
	s_waitcnt lgkmcnt(0)
	global_load_dwordx4 v[40:43], v[24:25], off offset:416
	global_load_dwordx4 v[48:51], v[24:25], off offset:400
	;; [unrolled: 1-line block ×3, first 2 shown]
	s_movk_i32 s6, 0x4f
	v_accvgpr_read_b32 v26, a80
	v_mul_lo_u16_sdwa v24, v26, s6 dst_sel:DWORD dst_unused:UNUSED_PAD src0_sel:BYTE_0 src1_sel:DWORD
	v_lshrrev_b16_e32 v24, 12, v24
	v_mul_lo_u16_e32 v24, 52, v24
	v_sub_u16_e32 v24, v26, v24
	v_and_b32_e32 v89, 0xff, v24
	v_mad_u64_u32 v[24:25], s[6:7], v89, 48, s[0:1]
	global_load_dwordx4 v[52:55], v[24:25], off offset:416
	global_load_dwordx4 v[36:39], v[24:25], off offset:400
	;; [unrolled: 1-line block ×3, first 2 shown]
	v_add_u32_e32 v96, 0x800, v136
	v_add_u32_e32 v99, 0x1000, v136
	;; [unrolled: 1-line block ×5, first 2 shown]
	ds_read2_b64 v[56:59], v136 offset1:52
	ds_read2_b64 v[84:87], v136 offset0:104 offset1:156
	ds_read2_b64 v[80:83], v96 offset0:56 offset1:108
	;; [unrolled: 1-line block ×9, first 2 shown]
	s_waitcnt lgkmcnt(7)
	v_mov_b32_e32 v24, v81
	s_waitcnt lgkmcnt(5)
	v_mov_b32_e32 v25, v60
	;; [unrolled: 2-line block ×3, first 2 shown]
	v_mov_b32_e32 v27, v104
	s_mov_b32 s20, 0x3eae86e6
	s_mov_b32 s21, 0xbf08b237
	;; [unrolled: 1-line block ×12, first 2 shown]
	v_lshlrev_b32_e32 v101, 3, v89
	v_accvgpr_write_b32 a79, v101
	s_waitcnt vmcnt(5)
	v_mul_f32_e32 v31, v105, v40
	s_waitcnt vmcnt(4)
	v_mul_f32_e32 v93, v83, v51
	v_mul_f32_e32 v111, v104, v41
	;; [unrolled: 1-line block ×5, first 2 shown]
	s_waitcnt vmcnt(3)
	v_mul_f32_e32 v91, v109, v45
	v_pk_mul_f32 v[28:29], v[86:87], v[48:49] op_sel_hi:[1,0]
	v_mov_b32_e32 v81, v61
	v_mov_b32_e32 v60, v51
	;; [unrolled: 1-line block ×6, first 2 shown]
	s_waitcnt lgkmcnt(0)
	v_pk_mul_f32 v[118:119], v[64:65], v[46:47] op_sel_hi:[1,0]
	v_mov_b32_e32 v92, v47
	v_fma_f32 v93, v82, v50, -v93
	v_mov_b32_e32 v187, v40
	v_mov_b32_e32 v116, v50
	;; [unrolled: 1-line block ×4, first 2 shown]
	v_fma_f32 v30, v80, v50, -v30
	v_pk_fma_f32 v[120:121], v[86:87], v[48:49], v[28:29] op_sel:[0,1,1] op_sel_hi:[1,1,0]
	v_pk_fma_f32 v[28:29], v[86:87], v[48:49], v[28:29] op_sel:[0,1,1] op_sel_hi:[1,1,0] neg_lo:[1,0,0] neg_hi:[1,0,0]
	v_pk_mul_f32 v[80:81], v[80:81], v[60:61]
	v_pk_mul_f32 v[86:87], v[108:109], v[104:105]
	v_pk_fma_f32 v[104:105], v[64:65], v[92:93], v[118:119] op_sel:[0,0,1] op_sel_hi:[1,0,0]
	v_pk_fma_f32 v[64:65], v[64:65], v[92:93], v[118:119] op_sel:[0,0,1] op_sel_hi:[1,0,0] neg_lo:[1,0,0] neg_hi:[1,0,0]
	v_fma_f32 v110, v108, v44, -v91
	v_pk_fma_f32 v[122:123], v[24:25], v[50:51], v[80:81]
	v_pk_fma_f32 v[24:25], v[24:25], v[116:117], v[80:81] neg_lo:[0,0,1] neg_hi:[0,0,1]
	v_pk_fma_f32 v[80:81], v[26:27], v[44:45], v[86:87]
	v_pk_fma_f32 v[26:27], v[26:27], v[186:187], v[86:87] neg_lo:[0,0,1] neg_hi:[0,0,1]
	v_mov_b32_e32 v112, v29
	v_mov_b32_e32 v114, v65
	v_pk_add_f32 v[108:109], v[30:31], v[110:111]
	v_mov_b32_e32 v121, v29
	v_mov_b32_e32 v123, v25
	;; [unrolled: 1-line block ×4, first 2 shown]
	v_pk_add_f32 v[112:113], v[112:113], v[114:115]
	v_pk_add_f32 v[118:119], v[120:121], v[104:105]
	v_pk_add_f32 v[104:105], v[120:121], v[104:105] neg_lo:[0,1] neg_hi:[0,1]
	v_pk_add_f32 v[120:121], v[122:123], v[80:81]
	v_pk_add_f32 v[80:81], v[122:123], v[80:81] neg_lo:[0,1] neg_hi:[0,1]
	v_mov_b32_e32 v64, v113
	v_mov_b32_e32 v65, v30
	;; [unrolled: 1-line block ×4, first 2 shown]
	v_pk_add_f32 v[114:115], v[64:65], v[114:115] neg_lo:[0,1] neg_hi:[0,1]
	v_mov_b32_e32 v64, v104
	v_mov_b32_e32 v65, v81
	v_pk_add_f32 v[122:123], v[64:65], v[114:115] neg_lo:[0,1] neg_hi:[0,1]
	v_mov_b32_e32 v64, v114
	v_mov_b32_e32 v65, v105
	s_waitcnt vmcnt(1)
	v_mul_f32_e32 v24, v103, v39
	s_waitcnt vmcnt(0)
	v_mul_f32_e32 v26, v71, v33
	v_pk_add_f32 v[64:65], v[64:65], v[80:81] neg_lo:[0,1] neg_hi:[0,1]
	v_fma_f32 v86, v102, v38, -v24
	v_fma_f32 v116, v70, v32, -v26
	v_pk_mul_f32 v[126:127], v[64:65], s[22:23]
	v_pk_add_f32 v[64:65], v[80:81], v[114:115]
	v_mov_b32_e32 v26, v27
	v_mov_b32_e32 v27, v120
	;; [unrolled: 1-line block ×4, first 2 shown]
	v_pk_add_f32 v[128:129], v[64:65], v[104:105]
	v_pk_add_f32 v[64:65], v[108:109], v[112:113]
	;; [unrolled: 1-line block ×3, first 2 shown]
	v_mov_b32_e32 v27, v118
	v_mov_b32_e32 v26, v24
	;; [unrolled: 1-line block ×6, first 2 shown]
	v_pk_add_f32 v[26:27], v[26:27], v[108:109] neg_lo:[0,1] neg_hi:[0,1]
	v_pk_add_f32 v[130:131], v[112:113], v[130:131] neg_lo:[0,1] neg_hi:[0,1]
	v_pk_add_f32 v[24:25], v[64:65], v[24:25]
	v_pk_mul_f32 v[124:125], v[122:123], s[20:21]
	v_pk_add_f32 v[64:65], v[56:57], v[24:25]
	v_pk_mul_f32 v[26:27], v[26:27], s[26:27]
	v_pk_mul_f32 v[56:57], v[130:131], s[28:29]
	v_mov_b32_e32 v81, v115
	v_mov_b32_e32 v109, v120
	;; [unrolled: 1-line block ×3, first 2 shown]
	v_pk_fma_f32 v[130:131], v[130:131], s[28:29], v[26:27]
	v_pk_fma_f32 v[122:123], v[122:123], s[20:21], v[126:127]
	v_pk_add_f32 v[80:81], v[80:81], v[104:105] neg_lo:[0,1] neg_hi:[0,1]
	v_pk_add_f32 v[104:105], v[108:109], v[112:113] neg_lo:[0,1] neg_hi:[0,1]
	v_mov_b32_e32 v108, v56
	v_mov_b32_e32 v109, v27
	;; [unrolled: 1-line block ×5, first 2 shown]
	v_pk_fma_f32 v[24:25], v[24:25], s[24:25], v[64:65] op_sel_hi:[1,0,1] neg_lo:[1,0,0] neg_hi:[1,0,0]
	v_pk_fma_f32 v[108:109], v[104:105], s[18:19], v[108:109] op_sel_hi:[1,0,1] neg_lo:[1,0,1] neg_hi:[1,0,1]
	v_mov_b32_e32 v112, v124
	v_pk_fma_f32 v[26:27], v[104:105], s[18:19], v[26:27] op_sel_hi:[1,0,1] neg_lo:[0,0,1] neg_hi:[0,0,1]
	v_pk_fma_f32 v[56:57], v[80:81], s[16:17], v[126:127] op_sel_hi:[1,0,1] neg_lo:[0,0,1] neg_hi:[0,0,1]
	v_pk_add_f32 v[130:131], v[130:131], v[24:25]
	v_pk_fma_f32 v[112:113], v[80:81], s[16:17], v[112:113] op_sel_hi:[1,0,1] neg_lo:[1,0,1] neg_hi:[1,0,1]
	v_pk_add_f32 v[108:109], v[108:109], v[24:25]
	v_pk_add_f32 v[24:25], v[26:27], v[24:25]
	v_pk_fma_f32 v[26:27], v[128:129], s[6:7], v[56:57] op_sel_hi:[1,0,1]
	v_pk_fma_f32 v[112:113], v[128:129], s[6:7], v[112:113] op_sel_hi:[1,0,1]
	v_pk_add_f32 v[80:81], v[24:25], v[26:27] neg_lo:[0,1] neg_hi:[0,1]
	v_pk_add_f32 v[24:25], v[24:25], v[26:27]
	ds_read_b64 v[26:27], v136 offset:8320
	v_pk_mul_f32 v[104:105], v[74:75], v[36:37] op_sel_hi:[1,0]
	v_mul_f32_e32 v31, v107, v54
	v_mul_f32_e32 v111, v106, v55
	v_pk_add_f32 v[114:115], v[108:109], v[112:113]
	v_pk_add_f32 v[108:109], v[108:109], v[112:113] neg_lo:[0,1] neg_hi:[0,1]
	v_pk_fma_f32 v[112:113], v[74:75], v[36:37], v[104:105] op_sel:[0,1,1] op_sel_hi:[1,1,0]
	v_pk_fma_f32 v[74:75], v[74:75], v[36:37], v[104:105] op_sel:[0,1,1] op_sel_hi:[1,1,0] neg_lo:[1,0,0] neg_hi:[1,0,0]
	v_mov_b32_e32 v104, v103
	v_mov_b32_e32 v105, v106
	;; [unrolled: 1-line block ×7, first 2 shown]
	v_pk_mul_f32 v[102:103], v[102:103], v[106:107]
	v_mul_f32_e32 v87, v79, v52
	v_mul_f32_e32 v117, v78, v53
	v_pk_fma_f32 v[106:107], v[104:105], v[38:39], v[102:103]
	v_pk_fma_f32 v[102:103], v[104:105], v[118:119], v[102:103] neg_lo:[0,0,1] neg_hi:[0,0,1]
	v_mov_b32_e32 v104, v71
	v_mov_b32_e32 v105, v78
	;; [unrolled: 1-line block ×7, first 2 shown]
	v_pk_mul_f32 v[70:71], v[70:71], v[78:79]
	v_mov_b32_e32 v30, v35
	v_pk_fma_f32 v[78:79], v[104:105], v[32:33], v[70:71]
	v_pk_fma_f32 v[70:71], v[104:105], v[118:119], v[70:71] neg_lo:[0,0,1] neg_hi:[0,0,1]
	s_waitcnt lgkmcnt(0)
	v_pk_mul_f32 v[104:105], v[26:27], v[34:35] op_sel_hi:[1,0]
	v_mov_b32_e32 v113, v75
	v_pk_fma_f32 v[118:119], v[26:27], v[30:31], v[104:105] op_sel:[0,0,1] op_sel_hi:[1,0,0]
	v_pk_fma_f32 v[26:27], v[26:27], v[30:31], v[104:105] op_sel:[0,0,1] op_sel_hi:[1,0,0] neg_lo:[1,0,0] neg_hi:[1,0,0]
	v_mov_b32_e32 v107, v103
	v_mov_b32_e32 v79, v71
	;; [unrolled: 1-line block ×5, first 2 shown]
	v_pk_add_f32 v[56:57], v[86:87], v[116:117]
	v_pk_add_f32 v[104:105], v[112:113], v[118:119]
	v_pk_add_f32 v[112:113], v[112:113], v[118:119] neg_lo:[0,1] neg_hi:[0,1]
	v_pk_add_f32 v[118:119], v[106:107], v[78:79]
	v_pk_add_f32 v[26:27], v[30:31], v[110:111]
	v_mov_b32_e32 v31, v86
	v_mov_b32_e32 v30, v27
	;; [unrolled: 1-line block ×8, first 2 shown]
	v_pk_add_f32 v[30:31], v[30:31], v[74:75] neg_lo:[0,1] neg_hi:[0,1]
	v_pk_add_f32 v[116:117], v[56:57], v[26:27]
	v_pk_add_f32 v[70:71], v[70:71], v[102:103]
	v_pk_add_f32 v[78:79], v[106:107], v[78:79] neg_lo:[0,1] neg_hi:[0,1]
	v_mov_b32_e32 v106, v30
	v_mov_b32_e32 v107, v113
	;; [unrolled: 1-line block ×6, first 2 shown]
	v_pk_add_f32 v[106:107], v[106:107], v[78:79] neg_lo:[0,1] neg_hi:[0,1]
	v_pk_add_f32 v[102:103], v[102:103], v[56:57] neg_lo:[0,1] neg_hi:[0,1]
	v_mov_b32_e32 v27, v117
	v_mov_b32_e32 v120, v70
	;; [unrolled: 1-line block ×3, first 2 shown]
	v_pk_add_f32 v[70:71], v[116:117], v[70:71]
	v_pk_add_f32 v[74:75], v[74:75], v[30:31] neg_lo:[0,1] neg_hi:[0,1]
	v_pk_mul_f32 v[106:107], v[106:107], s[22:23]
	v_pk_add_f32 v[110:111], v[78:79], v[30:31]
	v_pk_add_f32 v[120:121], v[26:27], v[120:121] neg_lo:[0,1] neg_hi:[0,1]
	v_pk_add_f32 v[84:85], v[84:85], v[70:71]
	v_pk_mul_f32 v[102:103], v[102:103], s[26:27]
	v_pk_mul_f32 v[86:87], v[74:75], s[20:21]
	v_pk_add_f32 v[110:111], v[110:111], v[112:113]
	v_pk_mul_f32 v[116:117], v[120:121], s[28:29]
	v_pk_fma_f32 v[70:71], v[70:71], s[24:25], v[84:85] op_sel_hi:[1,0,1] neg_lo:[1,0,0] neg_hi:[1,0,0]
	v_pk_fma_f32 v[120:121], v[120:121], s[28:29], v[102:103]
	v_pk_fma_f32 v[74:75], v[74:75], s[20:21], v[106:107]
	v_pk_add_f32 v[120:121], v[120:121], v[70:71]
	v_pk_fma_f32 v[74:75], v[110:111], s[6:7], v[74:75] op_sel_hi:[1,0,1]
	v_pk_fma_f32 v[122:123], v[128:129], s[6:7], v[122:123] op_sel_hi:[1,0,1]
	v_pk_add_f32 v[124:125], v[120:121], v[74:75]
	v_pk_add_f32 v[74:75], v[120:121], v[74:75] neg_lo:[0,1] neg_hi:[0,1]
	v_mov_b32_e32 v121, v83
	v_mov_b32_e32 v128, v77
	;; [unrolled: 1-line block ×5, first 2 shown]
	v_mul_f32_e32 v88, v72, v49
	v_mov_b32_e32 v120, v76
	v_mov_b32_e32 v126, v40
	;; [unrolled: 1-line block ×3, first 2 shown]
	v_pk_mul_f32 v[82:83], v[128:129], v[82:83]
	v_fmac_f32_e32 v88, v73, v48
	v_pk_fma_f32 v[128:129], v[76:77], v[40:41], v[82:83] neg_lo:[0,0,1] neg_hi:[0,0,1]
	v_pk_fma_f32 v[82:83], v[120:121], v[126:127], v[82:83]
	v_mov_b32_e32 v120, v72
	v_mov_b32_e32 v72, v73
	;; [unrolled: 1-line block ×4, first 2 shown]
	v_mul_f32_e32 v94, v69, v45
	v_mov_b32_e32 v121, v77
	v_mov_b32_e32 v186, v48
	v_pk_mul_f32 v[72:73], v[72:73], v[40:41]
	v_fma_f32 v95, v68, v44, -v94
	v_pk_add_f32 v[132:133], v[130:131], v[122:123]
	v_pk_add_f32 v[122:123], v[130:131], v[122:123] neg_lo:[0,1] neg_hi:[0,1]
	v_pk_fma_f32 v[76:77], v[120:121], v[186:187], v[72:73] neg_lo:[0,0,1] neg_hi:[0,0,1]
	v_pk_fma_f32 v[72:73], v[120:121], v[186:187], v[72:73]
	v_mov_b32_e32 v121, v69
	v_mov_b32_e32 v130, v63
	;; [unrolled: 1-line block ×5, first 2 shown]
	v_mul_f32_e32 v90, v66, v47
	v_mov_b32_e32 v120, v62
	v_mov_b32_e32 v126, v42
	v_mov_b32_e32 v127, v44
	v_pk_mul_f32 v[68:69], v[130:131], v[68:69]
	v_fmac_f32_e32 v90, v67, v46
	v_pk_fma_f32 v[130:131], v[62:63], v[42:43], v[68:69] neg_lo:[0,0,1] neg_hi:[0,0,1]
	v_pk_fma_f32 v[68:69], v[120:121], v[126:127], v[68:69]
	v_mov_b32_e32 v120, v66
	v_mov_b32_e32 v121, v63
	;; [unrolled: 1-line block ×8, first 2 shown]
	v_pk_mul_f32 v[62:63], v[66:67], v[62:63]
	v_mov_b32_e32 v129, v83
	v_pk_fma_f32 v[66:67], v[120:121], v[126:127], v[62:63] neg_lo:[0,0,1] neg_hi:[0,0,1]
	v_pk_fma_f32 v[62:63], v[120:121], v[126:127], v[62:63]
	v_mov_b32_e32 v77, v73
	v_mov_b32_e32 v131, v69
	;; [unrolled: 1-line block ×11, first 2 shown]
	v_add_f32_e32 v61, v88, v90
	v_add_f32_e32 v28, v93, v95
	v_accvgpr_write_b32 a80, v126
	v_pk_add_f32 v[88:89], v[88:89], v[90:91] neg_lo:[0,1] neg_hi:[0,1]
	v_pk_add_f32 v[68:69], v[92:93], v[94:95] neg_lo:[0,1] neg_hi:[0,1]
	v_pk_add_f32 v[82:83], v[128:129], v[130:131]
	v_pk_add_f32 v[66:67], v[76:77], v[66:67]
	v_pk_add_f32 v[62:63], v[62:63], v[72:73] neg_lo:[0,1] neg_hi:[0,1]
	v_accvgpr_write_b32 a81, v127
	v_add_f32_e32 v72, v28, v66
	v_add_f32_e32 v77, v83, v61
	v_mov_b32_e32 v60, v82
	v_mov_b32_e32 v29, v67
	;; [unrolled: 1-line block ×8, first 2 shown]
	v_pk_add_f32 v[90:91], v[60:61], v[28:29] neg_lo:[0,1] neg_hi:[0,1]
	v_pk_add_f32 v[94:95], v[62:63], v[68:69]
	v_pk_add_f32 v[120:121], v[120:121], v[126:127] neg_lo:[0,1] neg_hi:[0,1]
	v_mov_b32_e32 v126, v88
	v_mov_b32_e32 v63, v69
	v_pk_add_f32 v[72:73], v[72:73], v[76:77]
	v_pk_add_f32 v[92:93], v[66:67], v[82:83] neg_lo:[0,1] neg_hi:[0,1]
	v_pk_add_f32 v[62:63], v[126:127], v[62:63] neg_lo:[0,1] neg_hi:[0,1]
	v_pk_add_f32 v[58:59], v[58:59], v[72:73]
	v_pk_mul_f32 v[90:91], v[90:91], s[26:27]
	v_pk_mul_f32 v[120:121], v[120:121], s[22:23]
	v_pk_add_f32 v[76:77], v[94:95], v[88:89]
	v_pk_mul_f32 v[94:95], v[92:93], s[28:29]
	v_pk_mul_f32 v[126:127], v[62:63], s[20:21]
	v_pk_fma_f32 v[72:73], v[72:73], s[24:25], v[58:59] op_sel_hi:[1,0,1] neg_lo:[1,0,0] neg_hi:[1,0,0]
	v_pk_fma_f32 v[92:93], v[92:93], s[28:29], v[90:91]
	v_pk_fma_f32 v[62:63], v[62:63], s[20:21], v[120:121]
	v_pk_add_f32 v[92:93], v[92:93], v[72:73]
	v_pk_fma_f32 v[62:63], v[76:77], s[6:7], v[62:63] op_sel_hi:[1,0,1]
	s_nop 0
	v_pk_add_f32 v[128:129], v[92:93], v[62:63] neg_lo:[0,1] neg_hi:[0,1]
	v_pk_add_f32 v[62:63], v[92:93], v[62:63]
	v_mov_b32_e32 v92, v132
	v_mov_b32_e32 v93, v123
	; wave barrier
	ds_write2_b64 v136, v[64:65], v[92:93] offset1:52
	v_mov_b32_e32 v64, v114
	v_mov_b32_e32 v65, v109
	v_mov_b32_e32 v92, v80
	v_mov_b32_e32 v93, v25
	v_mov_b32_e32 v25, v81
	v_mov_b32_e32 v109, v115
	v_mov_b32_e32 v123, v133
	v_mov_b32_e32 v29, v83
	v_mov_b32_e32 v67, v61
	ds_write2_b64 v136, v[64:65], v[92:93] offset0:104 offset1:156
	ds_write2_b64 v100, v[24:25], v[108:109] offset0:80 offset1:132
	;; [unrolled: 1-line block ×3, first 2 shown]
	v_pk_add_f32 v[28:29], v[28:29], v[66:67] neg_lo:[0,1] neg_hi:[0,1]
	v_pk_add_f32 v[58:59], v[68:69], v[88:89] neg_lo:[0,1] neg_hi:[0,1]
	v_mov_b32_e32 v60, v94
	v_mov_b32_e32 v61, v91
	v_mov_b32_e32 v64, v126
	v_mov_b32_e32 v65, v121
	v_pk_fma_f32 v[60:61], v[28:29], s[18:19], v[60:61] op_sel_hi:[1,0,1] neg_lo:[1,0,1] neg_hi:[1,0,1]
	v_pk_fma_f32 v[64:65], v[58:59], s[16:17], v[64:65] op_sel_hi:[1,0,1] neg_lo:[1,0,1] neg_hi:[1,0,1]
	v_pk_add_f32 v[60:61], v[60:61], v[72:73]
	v_pk_fma_f32 v[64:65], v[76:77], s[6:7], v[64:65] op_sel_hi:[1,0,1]
	v_mov_b32_e32 v24, v62
	v_pk_add_f32 v[66:67], v[60:61], v[64:65] neg_lo:[0,1] neg_hi:[0,1]
	v_pk_add_f32 v[60:61], v[60:61], v[64:65]
	v_mov_b32_e32 v25, v129
	v_mov_b32_e32 v64, v60
	v_mov_b32_e32 v65, v67
	v_mov_b32_e32 v91, v95
	v_mov_b32_e32 v121, v127
	ds_write2_b64 v96, v[24:25], v[64:65] offset0:160 offset1:212
	v_pk_fma_f32 v[24:25], v[28:29], s[18:19], v[90:91] op_sel_hi:[1,0,1] neg_lo:[0,0,1] neg_hi:[0,0,1]
	v_pk_fma_f32 v[28:29], v[58:59], s[16:17], v[120:121] op_sel_hi:[1,0,1] neg_lo:[0,0,1] neg_hi:[0,0,1]
	v_pk_add_f32 v[24:25], v[24:25], v[72:73]
	v_pk_fma_f32 v[28:29], v[76:77], s[6:7], v[28:29] op_sel_hi:[1,0,1]
	v_mov_b32_e32 v67, v61
	v_pk_add_f32 v[58:59], v[24:25], v[28:29]
	v_pk_add_f32 v[24:25], v[24:25], v[28:29] neg_lo:[0,1] neg_hi:[0,1]
	v_mov_b32_e32 v29, v59
	v_mov_b32_e32 v28, v24
	;; [unrolled: 1-line block ×6, first 2 shown]
	v_add_u32_e32 v27, 0x1400, v101
	ds_write2_b64 v99, v[28:29], v[58:59] offset0:8 offset1:60
	ds_write2_b64 v99, v[66:67], v[128:129] offset0:112 offset1:164
	;; [unrolled: 1-line block ×3, first 2 shown]
	v_mov_b32_e32 v79, v31
	v_mov_b32_e32 v57, v118
	;; [unrolled: 1-line block ×3, first 2 shown]
	v_pk_add_f32 v[24:25], v[78:79], v[112:113] neg_lo:[0,1] neg_hi:[0,1]
	v_pk_add_f32 v[26:27], v[56:57], v[26:27] neg_lo:[0,1] neg_hi:[0,1]
	v_mov_b32_e32 v28, v116
	v_mov_b32_e32 v29, v103
	;; [unrolled: 1-line block ×6, first 2 shown]
	v_pk_fma_f32 v[28:29], v[26:27], s[18:19], v[28:29] op_sel_hi:[1,0,1] neg_lo:[1,0,1] neg_hi:[1,0,1]
	v_pk_fma_f32 v[30:31], v[24:25], s[16:17], v[30:31] op_sel_hi:[1,0,1] neg_lo:[1,0,1] neg_hi:[1,0,1]
	;; [unrolled: 1-line block ×4, first 2 shown]
	v_pk_add_f32 v[28:29], v[28:29], v[70:71]
	v_pk_fma_f32 v[30:31], v[110:111], s[6:7], v[30:31] op_sel_hi:[1,0,1]
	v_pk_add_f32 v[26:27], v[26:27], v[70:71]
	v_pk_fma_f32 v[24:25], v[110:111], s[6:7], v[24:25] op_sel_hi:[1,0,1]
	v_pk_add_f32 v[56:57], v[28:29], v[30:31]
	v_pk_add_f32 v[28:29], v[28:29], v[30:31] neg_lo:[0,1] neg_hi:[0,1]
	v_pk_add_f32 v[58:59], v[26:27], v[24:25] neg_lo:[0,1] neg_hi:[0,1]
	v_pk_add_f32 v[24:25], v[26:27], v[24:25]
	v_mov_b32_e32 v31, v29
	v_mov_b32_e32 v27, v25
	v_add_u32_e32 v40, 0x1800, v101
	v_mov_b32_e32 v25, v59
	v_mov_b32_e32 v29, v57
	;; [unrolled: 1-line block ×4, first 2 shown]
	ds_write2_b64 v40, v[24:25], v[28:29] offset0:168 offset1:220
	v_mov_b32_e32 v75, v125
	v_accvgpr_read_b32 v24, a52
	ds_write2_b64 v40, v[30:31], v[26:27] offset0:64 offset1:116
	ds_write_b64 v101, v[74:75] offset:8320
	s_waitcnt lgkmcnt(0)
	; wave barrier
	s_waitcnt lgkmcnt(0)
	global_load_dwordx4 v[56:59], v24, s[0:1] offset:2896
	v_accvgpr_read_b32 v26, a51
	global_load_dwordx4 v[60:63], v26, s[0:1] offset:2896
	v_accvgpr_read_b32 v24, a78
	;; [unrolled: 2-line block ×3, first 2 shown]
	v_lshlrev_b32_e32 v24, 3, v24
	global_load_dwordx4 v[76:79], v24, s[0:1] offset:2896
	v_accvgpr_read_b32 v24, a76
	v_lshlrev_b32_e32 v24, 3, v24
	global_load_dwordx4 v[72:75], v24, s[0:1] offset:2896
	v_accvgpr_read_b32 v24, a77
	;; [unrolled: 3-line block ×3, first 2 shown]
	global_load_dwordx4 v[64:67], v24, s[0:1] offset:2896
	ds_read2_b64 v[86:89], v99 offset0:112 offset1:164
	v_mov_b32_e32 v25, 0
	v_lshlrev_b32_e32 v24, 3, v134
	v_lshl_add_u64 v[84:85], s[14:15], 0, v[24:25]
	ds_read_b64 v[24:25], v136 offset:8320
	ds_read2_b64 v[90:93], v96 offset0:56 offset1:108
	s_mov_b32 s0, 0x3f5db3d7
	ds_read2_b64 v[102:105], v136 offset1:52
	ds_read2_b64 v[106:109], v98 offset0:88 offset1:140
	s_waitcnt vmcnt(6) lgkmcnt(4)
	v_pk_mul_f32 v[26:27], v[88:89], v[56:57] op_sel:[0,1]
	s_nop 0
	v_pk_fma_f32 v[30:31], v[88:89], v[56:57], v[26:27] op_sel:[0,0,1] op_sel_hi:[1,1,0] neg_lo:[0,0,1] neg_hi:[0,0,1]
	v_pk_fma_f32 v[26:27], v[88:89], v[56:57], v[26:27] op_sel:[0,0,1] op_sel_hi:[1,0,0]
	s_nop 0
	v_mov_b32_e32 v26, v59
	v_mov_b32_e32 v31, v27
	s_waitcnt lgkmcnt(3)
	v_pk_mul_f32 v[26:27], v[24:25], v[26:27] op_sel_hi:[1,0]
	s_nop 0
	v_pk_fma_f32 v[88:89], v[24:25], v[58:59], v[26:27] op_sel:[0,0,1] op_sel_hi:[1,1,0] neg_lo:[0,0,1] neg_hi:[0,0,1]
	v_pk_fma_f32 v[24:25], v[24:25], v[58:59], v[26:27] op_sel:[0,0,1] op_sel_hi:[1,0,0]
	s_nop 0
	v_mov_b32_e32 v89, v25
	v_pk_add_f32 v[24:25], v[30:31], v[88:89]
	v_pk_add_f32 v[26:27], v[30:31], v[88:89] neg_lo:[0,1] neg_hi:[0,1]
	s_waitcnt lgkmcnt(2)
	v_pk_fma_f32 v[24:25], v[24:25], 0.5, v[90:91] op_sel_hi:[1,0,1] neg_lo:[1,0,0] neg_hi:[1,0,0]
	v_pk_mul_f32 v[26:27], v[26:27], s[0:1] op_sel_hi:[1,0]
	s_nop 0
	v_pk_add_f32 v[118:119], v[24:25], v[26:27] op_sel:[0,1] op_sel_hi:[1,0] neg_lo:[0,1] neg_hi:[0,1]
	v_pk_add_f32 v[24:25], v[24:25], v[26:27] op_sel:[0,1] op_sel_hi:[1,0]
	s_waitcnt vmcnt(4)
	v_pk_mul_f32 v[26:27], v[92:93], v[80:81] op_sel:[0,1]
	v_mov_b32_e32 v29, v25
	v_pk_fma_f32 v[120:121], v[92:93], v[80:81], v[26:27] op_sel:[0,0,1] op_sel_hi:[1,1,0] neg_lo:[0,0,1] neg_hi:[0,0,1]
	v_pk_fma_f32 v[26:27], v[92:93], v[80:81], v[26:27] op_sel:[0,0,1] op_sel_hi:[1,0,0]
	ds_read2_b64 v[92:95], v96 offset0:160 offset1:212
	v_mov_b32_e32 v26, v83
	v_mov_b32_e32 v121, v27
	s_waitcnt lgkmcnt(1)
	v_pk_mul_f32 v[26:27], v[106:107], v[26:27] op_sel_hi:[1,0]
	v_mov_b32_e32 v25, v119
	v_pk_fma_f32 v[122:123], v[106:107], v[82:83], v[26:27] op_sel:[0,0,1] op_sel_hi:[1,1,0] neg_lo:[0,0,1] neg_hi:[0,0,1]
	v_pk_fma_f32 v[26:27], v[106:107], v[82:83], v[26:27] op_sel:[0,0,1] op_sel_hi:[1,0,0]
	s_waitcnt vmcnt(3) lgkmcnt(0)
	v_pk_mul_f32 v[106:107], v[92:93], v[76:77] op_sel:[0,1]
	v_mov_b32_e32 v123, v27
	v_pk_fma_f32 v[124:125], v[92:93], v[76:77], v[106:107] op_sel:[0,0,1] op_sel_hi:[1,1,0] neg_lo:[0,0,1] neg_hi:[0,0,1]
	v_pk_fma_f32 v[92:93], v[92:93], v[76:77], v[106:107] op_sel:[0,0,1] op_sel_hi:[1,0,0]
	v_pk_add_f32 v[26:27], v[102:103], v[120:121]
	v_mov_b32_e32 v92, v79
	v_mov_b32_e32 v125, v93
	v_pk_mul_f32 v[92:93], v[108:109], v[92:93] op_sel_hi:[1,0]
	v_pk_add_f32 v[26:27], v[26:27], v[122:123]
	v_pk_fma_f32 v[126:127], v[108:109], v[78:79], v[92:93] op_sel:[0,0,1] op_sel_hi:[1,1,0] neg_lo:[0,0,1] neg_hi:[0,0,1]
	v_pk_fma_f32 v[92:93], v[108:109], v[78:79], v[92:93] op_sel:[0,0,1] op_sel_hi:[1,0,0]
	ds_read2_b64 v[106:109], v136 offset0:104 offset1:156
	ds_read2_b64 v[110:113], v97 offset0:64 offset1:116
	v_mov_b32_e32 v127, v93
	v_pk_add_f32 v[92:93], v[104:105], v[124:125]
	v_mov_b32_e32 v28, v118
	v_pk_add_f32 v[128:129], v[92:93], v[126:127]
	s_waitcnt vmcnt(2)
	v_pk_mul_f32 v[92:93], v[94:95], v[72:73] op_sel:[0,1]
	s_nop 0
	v_pk_fma_f32 v[130:131], v[94:95], v[72:73], v[92:93] op_sel:[0,0,1] op_sel_hi:[1,1,0] neg_lo:[0,0,1] neg_hi:[0,0,1]
	v_pk_fma_f32 v[92:93], v[94:95], v[72:73], v[92:93] op_sel:[0,0,1] op_sel_hi:[1,0,0]
	s_nop 0
	v_mov_b32_e32 v92, v75
	v_mov_b32_e32 v131, v93
	s_waitcnt lgkmcnt(0)
	v_pk_mul_f32 v[114:115], v[110:111], v[92:93] op_sel_hi:[1,0]
	ds_read2_b64 v[92:95], v99 offset0:8 offset1:60
	v_pk_fma_f32 v[132:133], v[110:111], v[74:75], v[114:115] op_sel:[0,0,1] op_sel_hi:[1,1,0] neg_lo:[0,0,1] neg_hi:[0,0,1]
	v_pk_fma_f32 v[110:111], v[110:111], v[74:75], v[114:115] op_sel:[0,0,1] op_sel_hi:[1,0,0]
	s_waitcnt vmcnt(0) lgkmcnt(0)
	v_pk_mul_f32 v[142:143], v[94:95], v[64:65] op_sel:[0,1]
	v_mov_b32_e32 v133, v111
	v_pk_add_f32 v[110:111], v[106:107], v[130:131]
	v_pk_fma_f32 v[144:145], v[94:95], v[64:65], v[142:143] op_sel:[0,0,1] op_sel_hi:[1,1,0] neg_lo:[0,0,1] neg_hi:[0,0,1]
	v_pk_add_f32 v[134:135], v[110:111], v[132:133]
	v_pk_mul_f32 v[110:111], v[92:93], v[68:69] op_sel:[0,1]
	v_pk_fma_f32 v[94:95], v[94:95], v[64:65], v[142:143] op_sel:[0,0,1] op_sel_hi:[1,0,0]
	v_pk_fma_f32 v[138:139], v[92:93], v[68:69], v[110:111] op_sel:[0,0,1] op_sel_hi:[1,1,0] neg_lo:[0,0,1] neg_hi:[0,0,1]
	v_pk_fma_f32 v[92:93], v[92:93], v[68:69], v[110:111] op_sel:[0,0,1] op_sel_hi:[1,0,0]
	v_mov_b32_e32 v94, v67
	v_mov_b32_e32 v92, v71
	;; [unrolled: 1-line block ×3, first 2 shown]
	v_pk_mul_f32 v[92:93], v[112:113], v[92:93] op_sel_hi:[1,0]
	v_mov_b32_e32 v145, v95
	v_pk_fma_f32 v[140:141], v[112:113], v[70:71], v[92:93] op_sel:[0,0,1] op_sel_hi:[1,1,0] neg_lo:[0,0,1] neg_hi:[0,0,1]
	v_pk_fma_f32 v[92:93], v[112:113], v[70:71], v[92:93] op_sel:[0,0,1] op_sel_hi:[1,0,0]
	ds_read2_b64 v[110:113], v100 offset0:80 offset1:132
	ds_read2_b64 v[114:117], v97 offset0:168 offset1:220
	v_mov_b32_e32 v141, v93
	v_pk_add_f32 v[92:93], v[108:109], v[138:139]
	s_waitcnt lgkmcnt(0)
	v_pk_mul_f32 v[94:95], v[114:115], v[94:95] op_sel_hi:[1,0]
	v_pk_add_f32 v[92:93], v[92:93], v[140:141]
	ds_write2_b64 v136, v[26:27], v[128:129] offset1:52
	ds_write2_b64 v136, v[134:135], v[92:93] offset0:104 offset1:156
	v_pk_add_f32 v[26:27], v[138:139], v[140:141]
	v_pk_add_f32 v[92:93], v[138:139], v[140:141] neg_lo:[0,1] neg_hi:[0,1]
	v_pk_fma_f32 v[26:27], v[26:27], 0.5, v[108:109] op_sel_hi:[1,0,1] neg_lo:[1,0,0] neg_hi:[1,0,0]
	v_pk_mul_f32 v[92:93], v[92:93], s[0:1] op_sel_hi:[1,0]
	v_pk_fma_f32 v[142:143], v[114:115], v[66:67], v[94:95] op_sel:[0,0,1] op_sel_hi:[1,1,0] neg_lo:[0,0,1] neg_hi:[0,0,1]
	v_pk_add_f32 v[108:109], v[26:27], v[92:93] op_sel:[0,1] op_sel_hi:[1,0]
	v_pk_add_f32 v[26:27], v[26:27], v[92:93] op_sel:[0,1] op_sel_hi:[1,0] neg_lo:[0,1] neg_hi:[0,1]
	v_mov_b32_e32 v92, v108
	v_mov_b32_e32 v93, v27
	;; [unrolled: 1-line block ×3, first 2 shown]
	v_pk_mul_f32 v[108:109], v[86:87], v[60:61] op_sel:[0,1]
	v_pk_fma_f32 v[94:95], v[114:115], v[66:67], v[94:95] op_sel:[0,0,1] op_sel_hi:[1,0,0]
	v_pk_fma_f32 v[114:115], v[86:87], v[60:61], v[108:109] op_sel:[0,0,1] op_sel_hi:[1,1,0] neg_lo:[0,0,1] neg_hi:[0,0,1]
	v_pk_fma_f32 v[86:87], v[86:87], v[60:61], v[108:109] op_sel:[0,0,1] op_sel_hi:[1,0,0]
	v_mov_b32_e32 v143, v95
	v_mov_b32_e32 v86, v63
	;; [unrolled: 1-line block ×3, first 2 shown]
	v_pk_mul_f32 v[86:87], v[116:117], v[86:87] op_sel_hi:[1,0]
	v_pk_add_f32 v[94:95], v[110:111], v[144:145]
	v_pk_fma_f32 v[108:109], v[116:117], v[62:63], v[86:87] op_sel:[0,0,1] op_sel_hi:[1,1,0] neg_lo:[0,0,1] neg_hi:[0,0,1]
	v_pk_fma_f32 v[86:87], v[116:117], v[62:63], v[86:87] op_sel:[0,0,1] op_sel_hi:[1,0,0]
	v_pk_add_f32 v[116:117], v[120:121], v[122:123]
	v_mov_b32_e32 v109, v87
	v_pk_fma_f32 v[102:103], v[116:117], 0.5, v[102:103] op_sel_hi:[1,0,1] neg_lo:[1,0,0] neg_hi:[1,0,0]
	v_pk_add_f32 v[116:117], v[120:121], v[122:123] neg_lo:[0,1] neg_hi:[0,1]
	v_pk_add_f32 v[86:87], v[112:113], v[114:115]
	v_pk_mul_f32 v[116:117], v[116:117], s[0:1] op_sel_hi:[1,0]
	v_pk_add_f32 v[94:95], v[94:95], v[142:143]
	v_pk_add_f32 v[120:121], v[102:103], v[116:117] op_sel:[0,1] op_sel_hi:[1,0]
	v_pk_add_f32 v[102:103], v[102:103], v[116:117] op_sel:[0,1] op_sel_hi:[1,0] neg_lo:[0,1] neg_hi:[0,1]
	v_mov_b32_e32 v117, v121
	v_mov_b32_e32 v116, v102
	;; [unrolled: 1-line block ×3, first 2 shown]
	v_pk_add_f32 v[102:103], v[124:125], v[126:127]
	v_pk_add_f32 v[86:87], v[86:87], v[108:109]
	v_pk_fma_f32 v[102:103], v[102:103], 0.5, v[104:105] op_sel_hi:[1,0,1] neg_lo:[1,0,0] neg_hi:[1,0,0]
	v_pk_add_f32 v[104:105], v[124:125], v[126:127] neg_lo:[0,1] neg_hi:[0,1]
	s_nop 0
	v_pk_mul_f32 v[104:105], v[104:105], s[0:1] op_sel_hi:[1,0]
	s_nop 0
	v_pk_add_f32 v[122:123], v[102:103], v[104:105] op_sel:[0,1] op_sel_hi:[1,0]
	v_pk_add_f32 v[102:103], v[102:103], v[104:105] op_sel:[0,1] op_sel_hi:[1,0] neg_lo:[0,1] neg_hi:[0,1]
	v_mov_b32_e32 v105, v123
	v_mov_b32_e32 v104, v102
	ds_write2_b64 v98, v[116:117], v[104:105] offset0:88 offset1:140
	v_mov_b32_e32 v123, v103
	v_pk_add_f32 v[102:103], v[130:131], v[132:133]
	v_pk_add_f32 v[104:105], v[130:131], v[132:133] neg_lo:[0,1] neg_hi:[0,1]
	v_pk_fma_f32 v[102:103], v[102:103], 0.5, v[106:107] op_sel_hi:[1,0,1] neg_lo:[1,0,0] neg_hi:[1,0,0]
	v_pk_mul_f32 v[104:105], v[104:105], s[0:1] op_sel_hi:[1,0]
	s_nop 0
	v_pk_add_f32 v[106:107], v[102:103], v[104:105] op_sel:[0,1] op_sel_hi:[1,0]
	v_pk_add_f32 v[102:103], v[102:103], v[104:105] op_sel:[0,1] op_sel_hi:[1,0] neg_lo:[0,1] neg_hi:[0,1]
	v_mov_b32_e32 v105, v107
	v_mov_b32_e32 v104, v102
	ds_write2_b64 v97, v[104:105], v[26:27] offset0:64 offset1:116
	v_mov_b32_e32 v107, v103
	v_pk_add_f32 v[26:27], v[144:145], v[142:143]
	v_pk_add_f32 v[102:103], v[144:145], v[142:143] neg_lo:[0,1] neg_hi:[0,1]
	v_pk_fma_f32 v[26:27], v[26:27], 0.5, v[110:111] op_sel_hi:[1,0,1] neg_lo:[1,0,0] neg_hi:[1,0,0]
	v_pk_mul_f32 v[102:103], v[102:103], s[0:1] op_sel_hi:[1,0]
	ds_write2_b64 v96, v[122:123], v[106:107] offset0:160 offset1:212
	v_pk_add_f32 v[104:105], v[26:27], v[102:103] op_sel:[0,1] op_sel_hi:[1,0]
	v_pk_add_f32 v[26:27], v[26:27], v[102:103] op_sel:[0,1] op_sel_hi:[1,0] neg_lo:[0,1] neg_hi:[0,1]
	v_mov_b32_e32 v102, v104
	v_mov_b32_e32 v103, v27
	ds_write2_b64 v99, v[92:93], v[102:103] offset0:8 offset1:60
	ds_write2_b64 v100, v[94:95], v[86:87] offset0:80 offset1:132
	v_pk_add_f32 v[86:87], v[114:115], v[108:109]
	v_pk_add_f32 v[92:93], v[114:115], v[108:109] neg_lo:[0,1] neg_hi:[0,1]
	v_pk_fma_f32 v[86:87], v[86:87], 0.5, v[112:113] op_sel_hi:[1,0,1] neg_lo:[1,0,0] neg_hi:[1,0,0]
	v_pk_mul_f32 v[92:93], v[92:93], s[0:1] op_sel_hi:[1,0]
	v_mov_b32_e32 v27, v105
	v_pk_add_f32 v[94:95], v[86:87], v[92:93] op_sel:[0,1] op_sel_hi:[1,0]
	v_pk_add_f32 v[86:87], v[86:87], v[92:93] op_sel:[0,1] op_sel_hi:[1,0] neg_lo:[0,1] neg_hi:[0,1]
	v_mov_b32_e32 v92, v94
	v_mov_b32_e32 v93, v87
	;; [unrolled: 1-line block ×3, first 2 shown]
	ds_write2_b64 v97, v[26:27], v[86:87] offset0:168 offset1:220
	v_pk_add_f32 v[26:27], v[90:91], v[30:31]
	s_movk_i32 s0, 0x2000
	v_pk_add_f32 v[26:27], v[26:27], v[88:89]
	ds_write2_b64 v96, v[26:27], v[120:121] offset0:56 offset1:108
	ds_write2_b64 v99, v[92:93], v[24:25] offset0:112 offset1:164
	ds_write_b64 v136, v[28:29] offset:8320
	v_add_co_u32_e32 v24, vcc, s0, v84
	s_waitcnt lgkmcnt(0)
	s_nop 0
	v_addc_co_u32_e32 v25, vcc, 0, v85, vcc
	; wave barrier
	global_load_dwordx2 v[24:25], v[24:25], off offset:544
	s_movk_i32 s0, 0x3000
	v_add_co_u32_e32 v26, vcc, s0, v84
	s_mov_b64 s[0:1], 0x2220
	s_nop 0
	v_addc_co_u32_e32 v27, vcc, 0, v85, vcc
	global_load_dwordx2 v[30:31], v[26:27], off offset:816
	v_lshl_add_u64 v[86:87], v[84:85], 0, s[0:1]
	global_load_dwordx2 v[102:103], v[86:87], off offset:416
	global_load_dwordx2 v[104:105], v[26:27], off offset:1232
	;; [unrolled: 1-line block ×11, first 2 shown]
	ds_read2_b64 v[88:91], v136 offset1:52
	global_load_dwordx2 v[124:125], v[26:27], off offset:3312
	global_load_dwordx2 v[126:127], v[86:87], off offset:3744
	;; [unrolled: 1-line block ×3, first 2 shown]
	s_movk_i32 s0, 0x4000
	v_add_co_u32_e32 v84, vcc, s0, v84
	s_waitcnt vmcnt(15) lgkmcnt(0)
	v_mul_f32_e32 v92, v89, v25
	v_mul_f32_e32 v93, v88, v25
	v_fma_f32 v92, v88, v24, -v92
	v_fmac_f32_e32 v93, v89, v24
	global_load_dwordx2 v[24:25], v[26:27], off offset:3728
	v_addc_co_u32_e32 v85, vcc, 0, v85, vcc
	global_load_dwordx2 v[130:131], v[84:85], off offset:48
	global_load_dwordx2 v[26:27], v[86:87], off offset:3328
	ds_write_b64 v136, v[92:93]
	global_load_dwordx2 v[84:85], v[84:85], off offset:464
	ds_read2_b64 v[92:95], v99 offset0:34 offset1:86
	s_waitcnt vmcnt(18) lgkmcnt(0)
	v_mul_f32_e32 v88, v93, v31
	v_mul_f32_e32 v133, v92, v31
	v_fma_f32 v132, v92, v30, -v88
	v_fmac_f32_e32 v133, v93, v30
	s_waitcnt vmcnt(17)
	v_mul_f32_e32 v30, v91, v103
	v_mul_f32_e32 v31, v90, v103
	v_fma_f32 v30, v90, v102, -v30
	v_fmac_f32_e32 v31, v91, v102
	ds_read2_b64 v[88:91], v136 offset0:104 offset1:156
	s_waitcnt vmcnt(16)
	v_mul_f32_e32 v92, v95, v105
	v_mul_f32_e32 v103, v94, v105
	v_fma_f32 v102, v94, v104, -v92
	v_fmac_f32_e32 v103, v95, v104
	ds_read2_b64 v[92:95], v99 offset0:138 offset1:190
	s_waitcnt vmcnt(15) lgkmcnt(1)
	v_mul_f32_e32 v101, v89, v107
	v_mul_f32_e32 v105, v88, v107
	v_fma_f32 v104, v88, v106, -v101
	v_fmac_f32_e32 v105, v89, v106
	ds_write2_b64 v136, v[30:31], v[104:105] offset0:52 offset1:104
	s_waitcnt vmcnt(14) lgkmcnt(1)
	v_mul_f32_e32 v30, v93, v109
	v_mul_f32_e32 v31, v92, v109
	v_fma_f32 v30, v92, v108, -v30
	v_fmac_f32_e32 v31, v93, v108
	ds_write2_b64 v99, v[102:103], v[30:31] offset0:86 offset1:138
	s_waitcnt vmcnt(13)
	v_mul_f32_e32 v30, v91, v111
	v_mul_f32_e32 v31, v90, v111
	v_fma_f32 v30, v90, v110, -v30
	v_fmac_f32_e32 v31, v91, v110
	ds_read2_b64 v[88:91], v100 offset0:80 offset1:132
	s_waitcnt vmcnt(12)
	v_mul_f32_e32 v92, v95, v113
	v_mul_f32_e32 v103, v94, v113
	v_fma_f32 v102, v94, v112, -v92
	v_fmac_f32_e32 v103, v95, v112
	ds_read2_b64 v[92:95], v98 offset0:114 offset1:166
	s_waitcnt vmcnt(11) lgkmcnt(1)
	v_mul_f32_e32 v101, v89, v115
	v_mul_f32_e32 v105, v88, v115
	v_fma_f32 v104, v88, v114, -v101
	v_fmac_f32_e32 v105, v89, v114
	ds_write2_b64 v136, v[30:31], v[104:105] offset0:156 offset1:208
	s_waitcnt vmcnt(10) lgkmcnt(1)
	v_mul_f32_e32 v30, v93, v117
	v_mul_f32_e32 v31, v92, v117
	v_fma_f32 v30, v92, v116, -v30
	v_fmac_f32_e32 v31, v93, v116
	ds_write2_b64 v99, v[102:103], v[30:31] offset0:190 offset1:242
	;; [unrolled: 24-line block ×3, first 2 shown]
	s_waitcnt vmcnt(4)
	v_mul_f32_e32 v30, v91, v129
	v_mul_f32_e32 v31, v90, v129
	v_fma_f32 v30, v90, v128, -v30
	v_fmac_f32_e32 v31, v91, v128
	ds_read2_b64 v[88:91], v96 offset0:160 offset1:212
	s_waitcnt vmcnt(3)
	v_mul_f32_e32 v92, v95, v25
	v_mul_f32_e32 v103, v94, v25
	v_fma_f32 v102, v94, v24, -v92
	v_fmac_f32_e32 v103, v95, v24
	ds_read2_b64 v[92:95], v97 offset0:194 offset1:246
	s_waitcnt vmcnt(1) lgkmcnt(1)
	v_mul_f32_e32 v24, v89, v27
	v_mul_f32_e32 v25, v88, v27
	v_fma_f32 v24, v88, v26, -v24
	v_fmac_f32_e32 v25, v89, v26
	ds_write2_b64 v96, v[30:31], v[24:25] offset0:108 offset1:160
	s_waitcnt lgkmcnt(1)
	v_mul_f32_e32 v24, v93, v131
	v_mul_f32_e32 v25, v92, v131
	v_fma_f32 v24, v92, v130, -v24
	v_fmac_f32_e32 v25, v93, v130
	ds_write2_b64 v97, v[102:103], v[24:25] offset0:142 offset1:194
	v_mul_f32_e32 v24, v91, v127
	v_mul_f32_e32 v25, v90, v127
	v_fma_f32 v24, v90, v126, -v24
	v_fmac_f32_e32 v25, v91, v126
	v_add_u32_e32 v26, 0xc00, v136
	ds_write2_b64 v26, v[24:25], v[132:133] offset0:84 offset1:162
	s_waitcnt vmcnt(0)
	v_mul_f32_e32 v24, v95, v85
	v_mul_f32_e32 v25, v94, v85
	v_fma_f32 v24, v94, v84, -v24
	v_fmac_f32_e32 v25, v95, v84
	ds_write_b64 v136, v[24:25] offset:8112
	s_and_saveexec_b64 s[0:1], s[4:5]
	s_cbranch_execz .LBB0_17
; %bb.16:
	v_add_co_u32_e32 v24, vcc, 0x1000, v86
	s_nop 1
	v_addc_co_u32_e32 v25, vcc, 0, v87, vcc
	v_add_co_u32_e32 v26, vcc, 0x2000, v86
	global_load_dwordx2 v[24:25], v[24:25], off offset:64
	s_nop 0
	v_addc_co_u32_e32 v27, vcc, 0, v87, vcc
	global_load_dwordx2 v[26:27], v[26:27], off offset:336
	ds_read_b64 v[30:31], v136 offset:4160
	ds_read_b64 v[84:85], v136 offset:8528
	s_waitcnt vmcnt(1) lgkmcnt(1)
	v_mul_f32_e32 v86, v31, v25
	v_mul_f32_e32 v87, v30, v25
	v_fma_f32 v86, v30, v24, -v86
	v_fmac_f32_e32 v87, v31, v24
	s_waitcnt vmcnt(0) lgkmcnt(0)
	v_mul_f32_e32 v24, v85, v27
	v_mul_f32_e32 v25, v84, v27
	v_fma_f32 v24, v84, v26, -v24
	v_fmac_f32_e32 v25, v85, v26
	ds_write_b64 v136, v[86:87] offset:4160
	ds_write_b64 v136, v[24:25] offset:8528
.LBB0_17:
	s_or_b64 exec, exec, s[0:1]
	s_waitcnt lgkmcnt(0)
	; wave barrier
	s_waitcnt lgkmcnt(0)
	ds_read2_b64 v[106:109], v136 offset1:52
	ds_read2_b64 v[122:125], v99 offset0:34 offset1:86
	ds_read2_b64 v[102:105], v136 offset0:104 offset1:156
	;; [unrolled: 1-line block ×9, first 2 shown]
	v_accvgpr_read_b32 v24, a59
	v_lshlrev_b32_e32 v128, 3, v24
	v_accvgpr_read_b32 v24, a60
	v_lshlrev_b32_e32 v127, 3, v24
	;; [unrolled: 2-line block ×3, first 2 shown]
	s_and_saveexec_b64 s[0:1], s[4:5]
	s_cbranch_execz .LBB0_19
; %bb.18:
	ds_read_b64 v[28:29], v136 offset:4160
	ds_read_b64 v[146:147], v136 offset:8528
.LBB0_19:
	s_or_b64 exec, exec, s[0:1]
	s_waitcnt lgkmcnt(8)
	v_pk_add_f32 v[122:123], v[106:107], v[122:123] neg_lo:[0,1] neg_hi:[0,1]
	v_pk_add_f32 v[124:125], v[108:109], v[124:125] neg_lo:[0,1] neg_hi:[0,1]
	s_waitcnt lgkmcnt(6)
	v_pk_add_f32 v[132:133], v[104:105], v[120:121] neg_lo:[0,1] neg_hi:[0,1]
	v_pk_fma_f32 v[120:121], v[106:107], 2.0, v[122:123] op_sel_hi:[1,0,1] neg_lo:[0,0,1] neg_hi:[0,0,1]
	v_accvgpr_read_b32 v24, a46
	v_pk_add_f32 v[118:119], v[102:103], v[118:119] neg_lo:[0,1] neg_hi:[0,1]
	s_waitcnt lgkmcnt(0)
	; wave barrier
	s_waitcnt lgkmcnt(0)
	ds_write_b128 v24, v[120:123]
	v_pk_fma_f32 v[122:123], v[108:109], 2.0, v[124:125] op_sel_hi:[1,0,1] neg_lo:[0,0,1] neg_hi:[0,0,1]
	v_accvgpr_read_b32 v24, a47
	v_pk_add_f32 v[114:115], v[92:93], v[114:115] neg_lo:[0,1] neg_hi:[0,1]
	v_pk_add_f32 v[134:135], v[94:95], v[116:117] neg_lo:[0,1] neg_hi:[0,1]
	ds_write_b128 v24, v[122:125]
	v_pk_fma_f32 v[116:117], v[102:103], 2.0, v[118:119] op_sel_hi:[1,0,1] neg_lo:[0,0,1] neg_hi:[0,0,1]
	v_accvgpr_read_b32 v24, a48
	v_pk_add_f32 v[140:141], v[90:91], v[112:113] neg_lo:[0,1] neg_hi:[0,1]
	ds_write_b128 v24, v[116:119]
	v_pk_fma_f32 v[130:131], v[104:105], 2.0, v[132:133] op_sel_hi:[1,0,1] neg_lo:[0,0,1] neg_hi:[0,0,1]
	v_pk_fma_f32 v[112:113], v[92:93], 2.0, v[114:115] op_sel_hi:[1,0,1] neg_lo:[0,0,1] neg_hi:[0,0,1]
	v_accvgpr_read_b32 v24, a49
	v_pk_add_f32 v[110:111], v[88:89], v[110:111] neg_lo:[0,1] neg_hi:[0,1]
	ds_write_b128 v40, v[130:133]
	ds_write_b128 v24, v[112:115]
	v_pk_fma_f32 v[132:133], v[94:95], 2.0, v[134:135] op_sel_hi:[1,0,1] neg_lo:[0,0,1] neg_hi:[0,0,1]
	v_accvgpr_read_b32 v24, a51
	v_pk_add_f32 v[96:97], v[84:85], v[96:97] neg_lo:[0,1] neg_hi:[0,1]
	v_pk_add_f32 v[142:143], v[86:87], v[98:99] neg_lo:[0,1] neg_hi:[0,1]
	v_pk_add_f32 v[100:101], v[28:29], v[146:147] neg_lo:[0,1] neg_hi:[0,1]
	ds_write_b128 v24, v[132:135]
	v_pk_fma_f32 v[108:109], v[88:89], 2.0, v[110:111] op_sel_hi:[1,0,1] neg_lo:[0,0,1] neg_hi:[0,0,1]
	v_accvgpr_read_b32 v24, a52
	v_pk_fma_f32 v[138:139], v[90:91], 2.0, v[140:141] op_sel_hi:[1,0,1] neg_lo:[0,0,1] neg_hi:[0,0,1]
	v_pk_fma_f32 v[98:99], v[28:29], 2.0, v[100:101] op_sel_hi:[1,0,1] neg_lo:[0,0,1] neg_hi:[0,0,1]
	ds_write_b128 v24, v[108:111]
	ds_write_b128 v128, v[138:141]
	v_pk_fma_f32 v[94:95], v[84:85], 2.0, v[96:97] op_sel_hi:[1,0,1] neg_lo:[0,0,1] neg_hi:[0,0,1]
	v_pk_fma_f32 v[140:141], v[86:87], 2.0, v[142:143] op_sel_hi:[1,0,1] neg_lo:[0,0,1] neg_hi:[0,0,1]
	ds_write_b128 v127, v[94:97]
	ds_write_b128 v126, v[140:143]
	s_and_saveexec_b64 s[0:1], s[4:5]
	s_cbranch_execz .LBB0_21
; %bb.20:
	v_accvgpr_read_b32 v24, a50
	ds_write_b128 v24, v[98:101]
.LBB0_21:
	s_or_b64 exec, exec, s[0:1]
	v_add_u32_e32 v24, 0x1000, v136
	s_waitcnt lgkmcnt(0)
	; wave barrier
	s_waitcnt lgkmcnt(0)
	ds_read2_b64 v[122:125], v136 offset1:52
	ds_read2_b64 v[126:129], v24 offset0:34 offset1:86
	ds_read2_b64 v[114:117], v136 offset0:104 offset1:156
	;; [unrolled: 1-line block ×3, first 2 shown]
	v_add_u32_e32 v24, 0x400, v136
	ds_read2_b64 v[102:105], v24 offset0:80 offset1:132
	v_add_u32_e32 v24, 0x1400, v136
	ds_read2_b64 v[110:113], v24 offset0:114 offset1:166
	v_add_u32_e32 v24, 0x800, v136
	v_add_u32_e32 v25, 0x1800, v136
	ds_read2_b64 v[106:109], v24 offset0:56 offset1:108
	ds_read2_b64 v[84:87], v25 offset0:90 offset1:142
	;; [unrolled: 1-line block ×4, first 2 shown]
	v_mov_b32_e32 v134, v182
	v_mov_b32_e32 v135, v182
	;; [unrolled: 1-line block ×4, first 2 shown]
	s_and_saveexec_b64 s[0:1], s[4:5]
	s_cbranch_execz .LBB0_23
; %bb.22:
	ds_read_b64 v[98:99], v136 offset:4160
	ds_read_b64 v[100:101], v136 offset:8528
.LBB0_23:
	s_or_b64 exec, exec, s[0:1]
	s_waitcnt lgkmcnt(2)
	v_pk_mul_f32 v[24:25], v[138:139], v[84:85]
	s_waitcnt lgkmcnt(0)
	v_pk_mul_f32 v[26:27], v[182:183], v[100:101] op_sel:[0,1]
	v_pk_fma_f32 v[28:29], v[134:135], v[84:85], v[24:25] op_sel:[0,0,1] op_sel_hi:[1,1,0]
	v_pk_fma_f32 v[24:25], v[134:135], v[84:85], v[24:25] op_sel:[0,0,1] op_sel_hi:[1,1,0] neg_lo:[0,0,1] neg_hi:[0,0,1]
	s_nop 0
	v_mov_b32_e32 v29, v25
	v_pk_mul_f32 v[24:25], v[138:139], v[86:87]
	v_pk_add_f32 v[84:85], v[106:107], v[28:29] neg_lo:[0,1] neg_hi:[0,1]
	v_pk_fma_f32 v[28:29], v[134:135], v[86:87], v[24:25] op_sel:[0,0,1] op_sel_hi:[1,1,0]
	v_pk_fma_f32 v[24:25], v[134:135], v[86:87], v[24:25] op_sel:[0,0,1] op_sel_hi:[1,1,0] neg_lo:[0,0,1] neg_hi:[0,0,1]
	; wave barrier
	s_nop 0
	v_mov_b32_e32 v29, v25
	v_pk_mul_f32 v[24:25], v[138:139], v[92:93]
	v_pk_add_f32 v[88:89], v[108:109], v[28:29] neg_lo:[0,1] neg_hi:[0,1]
	v_pk_fma_f32 v[28:29], v[134:135], v[92:93], v[24:25] op_sel:[0,0,1] op_sel_hi:[1,1,0]
	v_pk_fma_f32 v[24:25], v[134:135], v[92:93], v[24:25] op_sel:[0,0,1] op_sel_hi:[1,1,0] neg_lo:[0,0,1] neg_hi:[0,0,1]
	v_pk_fma_f32 v[86:87], v[108:109], 2.0, v[88:89] op_sel_hi:[1,0,1] neg_lo:[0,0,1] neg_hi:[0,0,1]
	v_mov_b32_e32 v29, v25
	v_pk_mul_f32 v[24:25], v[138:139], v[94:95]
	v_pk_add_f32 v[92:93], v[130:131], v[28:29] neg_lo:[0,1] neg_hi:[0,1]
	v_pk_fma_f32 v[28:29], v[134:135], v[94:95], v[24:25] op_sel:[0,0,1] op_sel_hi:[1,1,0]
	v_pk_fma_f32 v[24:25], v[134:135], v[94:95], v[24:25] op_sel:[0,0,1] op_sel_hi:[1,1,0] neg_lo:[0,0,1] neg_hi:[0,0,1]
	v_pk_fma_f32 v[90:91], v[130:131], 2.0, v[92:93] op_sel_hi:[1,0,1] neg_lo:[0,0,1] neg_hi:[0,0,1]
	v_mov_b32_e32 v29, v25
	v_pk_fma_f32 v[24:25], v[182:183], v[100:101], v[26:27] op_sel:[0,0,1] op_sel_hi:[1,1,0]
	v_pk_fma_f32 v[26:27], v[182:183], v[100:101], v[26:27] op_sel:[0,0,1] op_sel_hi:[1,0,0] neg_lo:[1,0,0] neg_hi:[1,0,0]
	v_pk_add_f32 v[96:97], v[132:133], v[28:29] neg_lo:[0,1] neg_hi:[0,1]
	v_mov_b32_e32 v25, v27
	v_accvgpr_read_b32 v26, a74
	v_accvgpr_read_b32 v27, a75
	v_pk_add_f32 v[24:25], v[98:99], v[24:25] neg_lo:[0,1] neg_hi:[0,1]
	v_accvgpr_read_b32 v28, a53
	v_accvgpr_write_b32 a49, v27
	v_accvgpr_write_b32 a48, v26
	;; [unrolled: 1-line block ×4, first 2 shown]
	v_pk_fma_f32 v[98:99], v[98:99], 2.0, v[24:25] op_sel_hi:[1,0,1] neg_lo:[0,0,1] neg_hi:[0,0,1]
	v_pk_mul_f32 v[24:25], v[138:139], v[126:127]
	v_pk_fma_f32 v[94:95], v[132:133], 2.0, v[96:97] op_sel_hi:[1,0,1] neg_lo:[0,0,1] neg_hi:[0,0,1]
	v_pk_fma_f32 v[26:27], v[134:135], v[126:127], v[24:25] op_sel:[0,0,1] op_sel_hi:[1,1,0]
	v_pk_fma_f32 v[24:25], v[134:135], v[126:127], v[24:25] op_sel:[0,0,1] op_sel_hi:[1,1,0] neg_lo:[0,0,1] neg_hi:[0,0,1]
	s_nop 0
	v_mov_b32_e32 v27, v25
	v_pk_add_f32 v[24:25], v[122:123], v[26:27] neg_lo:[0,1] neg_hi:[0,1]
	s_nop 0
	v_pk_fma_f32 v[26:27], v[122:123], 2.0, v[24:25] op_sel_hi:[1,0,1] neg_lo:[0,0,1] neg_hi:[0,0,1]
	ds_write2_b64 v28, v[26:27], v[24:25] offset1:2
	v_pk_mul_f32 v[24:25], v[138:139], v[128:129]
	v_accvgpr_read_b32 v28, a54
	v_pk_fma_f32 v[26:27], v[134:135], v[128:129], v[24:25] op_sel:[0,0,1] op_sel_hi:[1,1,0]
	v_pk_fma_f32 v[24:25], v[134:135], v[128:129], v[24:25] op_sel:[0,0,1] op_sel_hi:[1,1,0] neg_lo:[0,0,1] neg_hi:[0,0,1]
	s_nop 0
	v_mov_b32_e32 v27, v25
	v_pk_add_f32 v[24:25], v[124:125], v[26:27] neg_lo:[0,1] neg_hi:[0,1]
	s_nop 0
	v_pk_fma_f32 v[26:27], v[124:125], 2.0, v[24:25] op_sel_hi:[1,0,1] neg_lo:[0,0,1] neg_hi:[0,0,1]
	ds_write2_b64 v28, v[26:27], v[24:25] offset1:2
	v_pk_mul_f32 v[24:25], v[138:139], v[118:119]
	v_accvgpr_read_b32 v28, a55
	;; [unrolled: 10-line block ×5, first 2 shown]
	v_pk_fma_f32 v[26:27], v[134:135], v[112:113], v[24:25] op_sel:[0,0,1] op_sel_hi:[1,1,0]
	v_pk_fma_f32 v[24:25], v[134:135], v[112:113], v[24:25] op_sel:[0,0,1] op_sel_hi:[1,1,0] neg_lo:[0,0,1] neg_hi:[0,0,1]
	s_nop 0
	v_mov_b32_e32 v27, v25
	v_pk_add_f32 v[24:25], v[104:105], v[26:27] neg_lo:[0,1] neg_hi:[0,1]
	s_nop 0
	v_pk_fma_f32 v[26:27], v[104:105], 2.0, v[24:25] op_sel_hi:[1,0,1] neg_lo:[0,0,1] neg_hi:[0,0,1]
	ds_write2_b64 v28, v[26:27], v[24:25] offset1:2
	v_pk_fma_f32 v[24:25], v[106:107], 2.0, v[84:85] op_sel_hi:[1,0,1] neg_lo:[0,0,1] neg_hi:[0,0,1]
	v_accvgpr_read_b32 v26, a62
	ds_write2_b64 v26, v[24:25], v[84:85] offset1:2
	v_accvgpr_read_b32 v24, a64
	ds_write2_b64 v24, v[86:87], v[88:89] offset1:2
	;; [unrolled: 2-line block ×4, first 2 shown]
	s_and_saveexec_b64 s[0:1], s[4:5]
	s_cbranch_execz .LBB0_25
; %bb.24:
	s_movk_i32 s6, 0x47c
	v_accvgpr_read_b32 v24, a35
	v_accvgpr_read_b32 v25, a63
	v_and_or_b32 v24, v25, s6, v24
	v_accvgpr_read_b32 v26, a46
	v_lshlrev_b32_e32 v24, 3, v24
	v_accvgpr_read_b32 v27, a47
	v_accvgpr_read_b32 v28, a48
	;; [unrolled: 1-line block ×3, first 2 shown]
	ds_write2_b64 v24, v[98:99], v[26:27] offset1:2
.LBB0_25:
	s_or_b64 exec, exec, s[0:1]
	v_add_u32_e32 v125, 0x800, v136
	v_add_u32_e32 v24, 0xc00, v136
	;; [unrolled: 1-line block ×4, first 2 shown]
	s_waitcnt lgkmcnt(0)
	; wave barrier
	s_waitcnt lgkmcnt(0)
	ds_read2_b64 v[100:103], v136 offset1:84
	ds_read2_b64 v[104:107], v136 offset0:168 offset1:252
	ds_read2_b64 v[120:123], v125 offset0:80 offset1:164
	;; [unrolled: 1-line block ×5, first 2 shown]
	ds_read_b64 v[172:173], v136 offset:8064
	v_mov_b32_e32 v40, v187
	v_mov_b32_e32 v158, v2
	;; [unrolled: 1-line block ×37, first 2 shown]
	s_and_saveexec_b64 s[0:1], s[2:3]
	s_cbranch_execz .LBB0_27
; %bb.26:
	v_add_u32_e32 v24, 0x400, v136
	ds_read2_b64 v[84:87], v136 offset0:52 offset1:136
	ds_read2_b64 v[88:91], v24 offset0:92 offset1:176
	;; [unrolled: 1-line block ×4, first 2 shown]
	v_add_u32_e32 v24, 0x1400, v136
	ds_read2_b64 a[46:49], v24 offset0:84 offset1:168
	ds_read2_b64 a[70:73], v124 offset0:124 offset1:208
	ds_read_b64 a[68:69], v136 offset:8480
.LBB0_27:
	s_or_b64 exec, exec, s[0:1]
	v_mov_b32_e32 v25, v56
	v_mov_b32_e32 v24, v56
	v_accvgpr_write_b32 a53, v25
	v_accvgpr_write_b32 a52, v24
	v_mov_b32_e32 v25, v68
	v_mov_b32_e32 v24, v68
	v_accvgpr_write_b32 a65, v25
	v_accvgpr_write_b32 a64, v24
	;; [unrolled: 4-line block ×4, first 2 shown]
	s_waitcnt lgkmcnt(4)
	v_pk_mul_f32 v[24:25], v[168:169], v[120:121]
	s_mov_b32 s0, 0x3f62ad3f
	v_pk_fma_f32 v[26:27], v[158:159], v[120:121], v[24:25] op_sel:[0,0,1] op_sel_hi:[1,1,0]
	v_pk_fma_f32 v[24:25], v[158:159], v[120:121], v[24:25] op_sel:[0,0,1] op_sel_hi:[1,1,0] neg_lo:[0,0,1] neg_hi:[0,0,1]
	s_mov_b32 s22, 0xbf52af12
	v_mov_b32_e32 v27, v25
	v_pk_mul_f32 v[24:25], v[166:167], v[122:123]
	s_mov_b32 s6, 0x3f116cb1
	v_pk_fma_f32 v[28:29], v[154:155], v[122:123], v[24:25] op_sel:[0,0,1] op_sel_hi:[1,1,0]
	v_pk_fma_f32 v[24:25], v[154:155], v[122:123], v[24:25] op_sel:[0,0,1] op_sel_hi:[1,1,0] neg_lo:[0,0,1] neg_hi:[0,0,1]
	s_mov_b32 s30, 0xbf7e222b
	v_mov_b32_e32 v29, v25
	s_waitcnt lgkmcnt(3)
	v_pk_mul_f32 v[24:25], v[164:165], v[116:117]
	s_mov_b32 s14, 0x3df6dbef
	v_pk_fma_f32 v[30:31], v[150:151], v[116:117], v[24:25] op_sel:[0,0,1] op_sel_hi:[1,1,0]
	v_pk_fma_f32 v[24:25], v[150:151], v[116:117], v[24:25] op_sel:[0,0,1] op_sel_hi:[1,1,0] neg_lo:[0,0,1] neg_hi:[0,0,1]
	s_mov_b32 s20, 0xbf6f5d39
	v_mov_b32_e32 v31, v25
	v_pk_mul_f32 v[24:25], v[160:161], v[118:119]
	s_mov_b32 s16, 0xbeb58ec6
	v_pk_fma_f32 v[122:123], v[146:147], v[118:119], v[24:25] op_sel:[0,0,1] op_sel_hi:[1,1,0]
	v_pk_fma_f32 v[24:25], v[146:147], v[118:119], v[24:25] op_sel:[0,0,1] op_sel_hi:[1,1,0] neg_lo:[0,0,1] neg_hi:[0,0,1]
	s_mov_b32 s24, 0xbf29c268
	v_mov_b32_e32 v123, v25
	s_waitcnt lgkmcnt(2)
	v_pk_mul_f32 v[24:25], v[156:157], v[112:113]
	s_mov_b32 s18, 0xbf3f9e67
	v_pk_fma_f32 v[118:119], v[142:143], v[112:113], v[24:25] op_sel:[0,0,1] op_sel_hi:[1,1,0]
	v_pk_fma_f32 v[24:25], v[142:143], v[112:113], v[24:25] op_sel:[0,0,1] op_sel_hi:[1,1,0] neg_lo:[0,0,1] neg_hi:[0,0,1]
	v_pk_add_f32 v[170:171], v[30:31], v[122:123]
	v_mov_b32_e32 v119, v25
	v_pk_mul_f32 v[24:25], v[152:153], v[114:115]
	v_pk_add_f32 v[168:169], v[28:29], v[118:119]
	v_pk_fma_f32 v[116:117], v[140:141], v[114:115], v[24:25] op_sel:[0,0,1] op_sel_hi:[1,1,0]
	v_pk_fma_f32 v[24:25], v[140:141], v[114:115], v[24:25] op_sel:[0,0,1] op_sel_hi:[1,1,0] neg_lo:[0,0,1] neg_hi:[0,0,1]
	s_mov_b32 s28, 0xbe750f2a
	v_mov_b32_e32 v117, v25
	s_waitcnt lgkmcnt(1)
	v_pk_mul_f32 v[24:25], v[148:149], v[108:109]
	v_pk_add_f32 v[166:167], v[26:27], v[116:117]
	v_pk_fma_f32 v[112:113], v[138:139], v[108:109], v[24:25] op_sel:[0,0,1] op_sel_hi:[1,1,0]
	v_pk_fma_f32 v[24:25], v[138:139], v[108:109], v[24:25] op_sel:[0,0,1] op_sel_hi:[1,1,0] neg_lo:[0,0,1] neg_hi:[0,0,1]
	s_mov_b32 s26, 0xbf788fa5
	v_mov_b32_e32 v113, v25
	v_pk_mul_f32 v[24:25], v[144:145], v[110:111]
	s_waitcnt lgkmcnt(0)
	v_pk_fma_f32 v[108:109], v[134:135], v[110:111], v[24:25] op_sel:[0,0,1] op_sel_hi:[1,1,0]
	v_pk_fma_f32 v[24:25], v[134:135], v[110:111], v[24:25] op_sel:[0,0,1] op_sel_hi:[1,1,0] neg_lo:[0,0,1] neg_hi:[0,0,1]
	; wave barrier
	s_nop 0
	v_mov_b32_e32 v109, v25
	v_pk_mul_f32 v[24:25], v[184:185], v[172:173]
	s_mov_b32 s38, 0x3f29c268
	v_pk_fma_f32 v[110:111], v[174:175], v[172:173], v[24:25] op_sel:[0,0,1] op_sel_hi:[1,1,0]
	v_pk_fma_f32 v[24:25], v[174:175], v[172:173], v[24:25] op_sel:[0,0,1] op_sel_hi:[1,1,0] neg_lo:[0,0,1] neg_hi:[0,0,1]
	s_mov_b32 s34, 0x3f7e222b
	v_mov_b32_e32 v111, v25
	v_pk_mul_f32 v[24:25], v[12:13], v[102:103] op_sel:[1,0]
	s_mov_b32 s36, 0x3eedf032
	v_pk_fma_f32 v[114:115], v[12:13], v[102:103], v[24:25] op_sel:[0,0,1] op_sel_hi:[1,1,0]
	v_pk_fma_f32 v[24:25], v[12:13], v[102:103], v[24:25] op_sel:[0,0,1] op_sel_hi:[0,1,0] neg_lo:[0,0,1] neg_hi:[0,0,1]
	v_mov_b32_e32 v115, v25
	v_pk_mul_f32 v[24:25], v[14:15], v[104:105] op_sel:[1,0]
	v_pk_add_f32 v[156:157], v[114:115], v[110:111] neg_lo:[0,1] neg_hi:[0,1]
	v_pk_fma_f32 v[120:121], v[14:15], v[104:105], v[24:25] op_sel:[0,0,1] op_sel_hi:[1,1,0]
	v_pk_fma_f32 v[24:25], v[14:15], v[104:105], v[24:25] op_sel:[0,0,1] op_sel_hi:[0,1,0] neg_lo:[0,0,1] neg_hi:[0,0,1]
	v_mov_b32_e32 v121, v25
	v_pk_mul_f32 v[24:25], v[0:1], v[106:107] op_sel:[1,0]
	v_pk_add_f32 v[154:155], v[114:115], v[110:111]
	v_pk_fma_f32 v[134:135], v[0:1], v[106:107], v[24:25] op_sel:[0,0,1] op_sel_hi:[1,1,0]
	v_pk_fma_f32 v[24:25], v[0:1], v[106:107], v[24:25] op_sel:[0,0,1] op_sel_hi:[0,1,0] neg_lo:[0,0,1] neg_hi:[0,0,1]
	v_mov_b32_e32 v135, v25
	v_pk_add_f32 v[24:25], v[100:101], v[114:115]
	v_pk_mul_f32 v[104:105], v[156:157], s[44:45] op_sel_hi:[1,0]
	v_pk_add_f32 v[24:25], v[24:25], v[120:121]
	v_pk_fma_f32 v[102:103], v[154:155], s[0:1], v[104:105] op_sel:[0,0,1] op_sel_hi:[1,0,0]
	v_pk_add_f32 v[24:25], v[24:25], v[134:135]
	v_pk_fma_f32 v[104:105], v[154:155], s[0:1], v[104:105] op_sel:[0,0,1] op_sel_hi:[1,0,0] neg_lo:[0,0,1] neg_hi:[0,0,1]
	v_pk_add_f32 v[24:25], v[24:25], v[26:27]
	v_pk_add_f32 v[160:161], v[120:121], v[108:109] neg_lo:[0,1] neg_hi:[0,1]
	v_pk_add_f32 v[24:25], v[24:25], v[28:29]
	v_mov_b32_e32 v106, v102
	v_pk_add_f32 v[24:25], v[24:25], v[30:31]
	v_mov_b32_e32 v107, v105
	v_pk_add_f32 v[24:25], v[24:25], v[122:123]
	v_pk_add_f32 v[158:159], v[120:121], v[108:109]
	;; [unrolled: 1-line block ×3, first 2 shown]
	v_pk_add_f32 v[164:165], v[134:135], v[112:113] neg_lo:[0,1] neg_hi:[0,1]
	v_pk_add_f32 v[24:25], v[24:25], v[116:117]
	v_pk_add_f32 v[162:163], v[134:135], v[112:113]
	;; [unrolled: 1-line block ×3, first 2 shown]
	v_pk_mul_f32 v[112:113], v[164:165], s[30:31] op_sel_hi:[1,0]
	v_pk_add_f32 v[24:25], v[24:25], v[108:109]
	v_pk_mul_f32 v[108:109], v[160:161], s[22:23] op_sel_hi:[1,0]
	v_pk_add_f32 v[24:25], v[24:25], v[110:111]
	v_pk_add_f32 v[110:111], v[100:101], v[106:107]
	v_pk_fma_f32 v[106:107], v[158:159], s[6:7], v[108:109] op_sel:[0,0,1] op_sel_hi:[1,0,0]
	v_pk_fma_f32 v[108:109], v[158:159], s[6:7], v[108:109] op_sel:[0,0,1] op_sel_hi:[1,0,0] neg_lo:[0,0,1] neg_hi:[0,0,1]
	v_mov_b32_e32 v114, v106
	v_mov_b32_e32 v115, v109
	v_pk_add_f32 v[114:115], v[114:115], v[110:111]
	v_pk_fma_f32 v[110:111], v[162:163], s[14:15], v[112:113] op_sel:[0,0,1] op_sel_hi:[1,0,0]
	v_pk_fma_f32 v[112:113], v[162:163], s[14:15], v[112:113] op_sel:[0,0,1] op_sel_hi:[1,0,0] neg_lo:[0,0,1] neg_hi:[0,0,1]
	v_pk_add_f32 v[26:27], v[26:27], v[116:117] neg_lo:[0,1] neg_hi:[0,1]
	v_mov_b32_e32 v120, v110
	v_mov_b32_e32 v121, v113
	v_pk_mul_f32 v[116:117], v[26:27], s[20:21] op_sel_hi:[1,0]
	v_pk_add_f32 v[120:121], v[120:121], v[114:115]
	v_pk_fma_f32 v[114:115], v[166:167], s[16:17], v[116:117] op_sel:[0,0,1] op_sel_hi:[1,0,0]
	v_pk_fma_f32 v[116:117], v[166:167], s[16:17], v[116:117] op_sel:[0,0,1] op_sel_hi:[1,0,0] neg_lo:[0,0,1] neg_hi:[0,0,1]
	v_mov_b32_e32 v134, v114
	v_mov_b32_e32 v135, v117
	v_pk_add_f32 v[28:29], v[28:29], v[118:119] neg_lo:[0,1] neg_hi:[0,1]
	v_pk_add_f32 v[134:135], v[134:135], v[120:121]
	v_pk_mul_f32 v[120:121], v[28:29], s[24:25] op_sel_hi:[1,0]
	v_pk_add_f32 v[30:31], v[30:31], v[122:123] neg_lo:[0,1] neg_hi:[0,1]
	v_pk_fma_f32 v[118:119], v[168:169], s[18:19], v[120:121] op_sel:[0,0,1] op_sel_hi:[1,0,0]
	v_pk_fma_f32 v[120:121], v[168:169], s[18:19], v[120:121] op_sel:[0,0,1] op_sel_hi:[1,0,0] neg_lo:[0,0,1] neg_hi:[0,0,1]
	v_mov_b32_e32 v138, v118
	v_mov_b32_e32 v139, v121
	v_pk_add_f32 v[138:139], v[138:139], v[134:135]
	v_pk_mul_f32 v[134:135], v[30:31], s[28:29] op_sel_hi:[1,0]
	v_pk_mul_f32 v[144:145], v[160:161], s[20:21] op_sel_hi:[1,0]
	v_pk_fma_f32 v[122:123], v[170:171], s[26:27], v[134:135] op_sel:[0,0,1] op_sel_hi:[1,0,0]
	v_pk_fma_f32 v[134:135], v[170:171], s[26:27], v[134:135] op_sel:[0,0,1] op_sel_hi:[1,0,0] neg_lo:[0,0,1] neg_hi:[0,0,1]
	v_mov_b32_e32 v140, v122
	v_mov_b32_e32 v141, v135
	v_pk_add_f32 v[138:139], v[140:141], v[138:139]
	ds_write2_b64 v137, v[24:25], v[138:139] offset1:4
	v_pk_mul_f32 v[24:25], v[156:157], s[22:23] op_sel_hi:[1,0]
	v_pk_fma_f32 v[142:143], v[158:159], s[16:17], v[144:145] op_sel:[0,0,1] op_sel_hi:[1,0,0]
	v_pk_fma_f32 v[138:139], v[154:155], s[6:7], v[24:25] op_sel:[0,0,1] op_sel_hi:[1,0,0]
	v_pk_fma_f32 v[140:141], v[154:155], s[6:7], v[24:25] op_sel:[0,0,1] op_sel_hi:[1,0,0] neg_lo:[0,0,1] neg_hi:[0,0,1]
	v_mov_b32_e32 v24, v138
	v_mov_b32_e32 v25, v141
	v_pk_fma_f32 v[144:145], v[158:159], s[16:17], v[144:145] op_sel:[0,0,1] op_sel_hi:[1,0,0] neg_lo:[0,0,1] neg_hi:[0,0,1]
	v_pk_add_f32 v[24:25], v[100:101], v[24:25]
	v_mov_b32_e32 v146, v142
	v_mov_b32_e32 v147, v145
	v_pk_mul_f32 v[148:149], v[164:165], s[28:29] op_sel_hi:[1,0]
	v_pk_add_f32 v[24:25], v[146:147], v[24:25]
	v_pk_fma_f32 v[146:147], v[162:163], s[26:27], v[148:149] op_sel:[0,0,1] op_sel_hi:[1,0,0]
	v_pk_fma_f32 v[148:149], v[162:163], s[26:27], v[148:149] op_sel:[0,0,1] op_sel_hi:[1,0,0] neg_lo:[0,0,1] neg_hi:[0,0,1]
	v_mov_b32_e32 v150, v146
	v_mov_b32_e32 v151, v149
	v_pk_mul_f32 v[152:153], v[26:27], s[38:39] op_sel_hi:[1,0]
	v_pk_add_f32 v[24:25], v[150:151], v[24:25]
	v_pk_fma_f32 v[150:151], v[166:167], s[18:19], v[152:153] op_sel:[0,0,1] op_sel_hi:[1,0,0]
	v_pk_fma_f32 v[152:153], v[166:167], s[18:19], v[152:153] op_sel:[0,0,1] op_sel_hi:[1,0,0] neg_lo:[0,0,1] neg_hi:[0,0,1]
	v_mov_b32_e32 v172, v150
	v_mov_b32_e32 v173, v153
	v_pk_add_f32 v[24:25], v[172:173], v[24:25]
	v_pk_mul_f32 v[172:173], v[28:29], s[34:35] op_sel_hi:[1,0]
	v_pk_mul_f32 v[210:211], v[160:161], s[28:29] op_sel_hi:[1,0]
	v_pk_fma_f32 v[174:175], v[168:169], s[14:15], v[172:173] op_sel:[0,0,1] op_sel_hi:[1,0,0]
	v_pk_fma_f32 v[172:173], v[168:169], s[14:15], v[172:173] op_sel:[0,0,1] op_sel_hi:[1,0,0] neg_lo:[0,0,1] neg_hi:[0,0,1]
	v_mov_b32_e32 v176, v174
	v_mov_b32_e32 v177, v173
	v_pk_add_f32 v[24:25], v[176:177], v[24:25]
	v_pk_mul_f32 v[176:177], v[30:31], s[36:37] op_sel_hi:[1,0]
	v_pk_fma_f32 v[212:213], v[158:159], s[26:27], v[210:211] op_sel:[0,0,1] op_sel_hi:[1,0,0]
	v_pk_fma_f32 v[178:179], v[170:171], s[0:1], v[176:177] op_sel:[0,0,1] op_sel_hi:[1,0,0]
	v_pk_fma_f32 v[176:177], v[170:171], s[0:1], v[176:177] op_sel:[0,0,1] op_sel_hi:[1,0,0] neg_lo:[0,0,1] neg_hi:[0,0,1]
	v_mov_b32_e32 v180, v178
	v_mov_b32_e32 v181, v177
	v_pk_add_f32 v[24:25], v[180:181], v[24:25]
	v_pk_mul_f32 v[180:181], v[156:157], s[30:31] op_sel_hi:[1,0]
	v_pk_fma_f32 v[210:211], v[158:159], s[26:27], v[210:211] op_sel:[0,0,1] op_sel_hi:[1,0,0] neg_lo:[0,0,1] neg_hi:[0,0,1]
	v_pk_fma_f32 v[184:185], v[154:155], s[14:15], v[180:181] op_sel:[0,0,1] op_sel_hi:[1,0,0]
	v_pk_fma_f32 v[180:181], v[154:155], s[14:15], v[180:181] op_sel:[0,0,1] op_sel_hi:[1,0,0] neg_lo:[0,0,1] neg_hi:[0,0,1]
	v_mov_b32_e32 v208, v184
	v_mov_b32_e32 v209, v181
	v_pk_add_f32 v[208:209], v[100:101], v[208:209]
	v_mov_b32_e32 v214, v212
	v_mov_b32_e32 v215, v211
	s_mov_b32 s46, 0x3f6f5d39
	v_pk_add_f32 v[208:209], v[214:215], v[208:209]
	v_pk_mul_f32 v[214:215], v[164:165], s[46:47] op_sel_hi:[1,0]
	v_pk_mul_f32 v[232:233], v[160:161], s[38:39] op_sel_hi:[1,0]
	v_pk_fma_f32 v[216:217], v[162:163], s[16:17], v[214:215] op_sel:[0,0,1] op_sel_hi:[1,0,0]
	v_pk_fma_f32 v[214:215], v[162:163], s[16:17], v[214:215] op_sel:[0,0,1] op_sel_hi:[1,0,0] neg_lo:[0,0,1] neg_hi:[0,0,1]
	v_mov_b32_e32 v218, v216
	v_mov_b32_e32 v219, v215
	v_pk_add_f32 v[208:209], v[218:219], v[208:209]
	v_pk_mul_f32 v[218:219], v[26:27], s[36:37] op_sel_hi:[1,0]
	v_pk_fma_f32 v[234:235], v[158:159], s[18:19], v[232:233] op_sel:[0,0,1] op_sel_hi:[1,0,0]
	v_pk_fma_f32 v[220:221], v[166:167], s[0:1], v[218:219] op_sel:[0,0,1] op_sel_hi:[1,0,0]
	v_pk_fma_f32 v[218:219], v[166:167], s[0:1], v[218:219] op_sel:[0,0,1] op_sel_hi:[1,0,0] neg_lo:[0,0,1] neg_hi:[0,0,1]
	v_mov_b32_e32 v222, v220
	v_mov_b32_e32 v223, v219
	v_pk_add_f32 v[208:209], v[222:223], v[208:209]
	v_pk_mul_f32 v[222:223], v[28:29], s[22:23] op_sel_hi:[1,0]
	v_pk_fma_f32 v[232:233], v[158:159], s[18:19], v[232:233] op_sel:[0,0,1] op_sel_hi:[1,0,0] neg_lo:[0,0,1] neg_hi:[0,0,1]
	v_pk_fma_f32 v[224:225], v[168:169], s[6:7], v[222:223] op_sel:[0,0,1] op_sel_hi:[1,0,0]
	v_pk_fma_f32 v[222:223], v[168:169], s[6:7], v[222:223] op_sel:[0,0,1] op_sel_hi:[1,0,0] neg_lo:[0,0,1] neg_hi:[0,0,1]
	v_mov_b32_e32 v226, v224
	v_mov_b32_e32 v227, v223
	v_pk_add_f32 v[208:209], v[226:227], v[208:209]
	v_pk_mul_f32 v[226:227], v[30:31], s[24:25] op_sel_hi:[1,0]
	v_mov_b32_e32 v236, v234
	v_pk_fma_f32 v[228:229], v[170:171], s[18:19], v[226:227] op_sel:[0,0,1] op_sel_hi:[1,0,0]
	v_pk_fma_f32 v[226:227], v[170:171], s[18:19], v[226:227] op_sel:[0,0,1] op_sel_hi:[1,0,0] neg_lo:[0,0,1] neg_hi:[0,0,1]
	v_mov_b32_e32 v230, v228
	v_mov_b32_e32 v231, v227
	v_pk_add_f32 v[208:209], v[230:231], v[208:209]
	ds_write2_b64 v137, v[24:25], v[208:209] offset0:8 offset1:12
	v_pk_mul_f32 v[24:25], v[156:157], s[20:21] op_sel_hi:[1,0]
	v_mov_b32_e32 v237, v233
	v_pk_fma_f32 v[208:209], v[154:155], s[16:17], v[24:25] op_sel:[0,0,1] op_sel_hi:[1,0,0]
	v_pk_fma_f32 v[24:25], v[154:155], s[16:17], v[24:25] op_sel:[0,0,1] op_sel_hi:[1,0,0] neg_lo:[0,0,1] neg_hi:[0,0,1]
	v_mov_b32_e32 v230, v208
	v_mov_b32_e32 v231, v25
	v_pk_add_f32 v[230:231], v[100:101], v[230:231]
	s_mov_b32 s42, 0x3e750f2a
	v_pk_add_f32 v[230:231], v[236:237], v[230:231]
	v_pk_mul_f32 v[236:237], v[164:165], s[36:37] op_sel_hi:[1,0]
	s_mov_b32 s40, 0x3f52af12
	v_pk_fma_f32 v[238:239], v[162:163], s[0:1], v[236:237] op_sel:[0,0,1] op_sel_hi:[1,0,0]
	v_pk_fma_f32 v[236:237], v[162:163], s[0:1], v[236:237] op_sel:[0,0,1] op_sel_hi:[1,0,0] neg_lo:[0,0,1] neg_hi:[0,0,1]
	v_mov_b32_e32 v240, v238
	v_mov_b32_e32 v241, v237
	v_pk_add_f32 v[230:231], v[240:241], v[230:231]
	v_pk_mul_f32 v[240:241], v[26:27], s[30:31] op_sel_hi:[1,0]
	v_pk_mul_f32 v[188:189], v[160:161], s[34:35] op_sel_hi:[1,0]
	v_pk_fma_f32 v[242:243], v[166:167], s[14:15], v[240:241] op_sel:[0,0,1] op_sel_hi:[1,0,0]
	v_pk_fma_f32 v[240:241], v[166:167], s[14:15], v[240:241] op_sel:[0,0,1] op_sel_hi:[1,0,0] neg_lo:[0,0,1] neg_hi:[0,0,1]
	v_mov_b32_e32 v244, v242
	v_mov_b32_e32 v245, v241
	v_pk_add_f32 v[230:231], v[244:245], v[230:231]
	v_pk_mul_f32 v[244:245], v[28:29], s[42:43] op_sel_hi:[1,0]
	v_pk_fma_f32 v[126:127], v[158:159], s[14:15], v[188:189] op_sel:[0,0,1] op_sel_hi:[1,0,0]
	v_pk_fma_f32 v[246:247], v[168:169], s[26:27], v[244:245] op_sel:[0,0,1] op_sel_hi:[1,0,0]
	v_pk_fma_f32 v[244:245], v[168:169], s[26:27], v[244:245] op_sel:[0,0,1] op_sel_hi:[1,0,0] neg_lo:[0,0,1] neg_hi:[0,0,1]
	v_mov_b32_e32 v248, v246
	v_mov_b32_e32 v249, v245
	v_pk_add_f32 v[230:231], v[248:249], v[230:231]
	v_pk_mul_f32 v[248:249], v[30:31], s[40:41] op_sel_hi:[1,0]
	v_pk_fma_f32 v[188:189], v[158:159], s[14:15], v[188:189] op_sel:[0,0,1] op_sel_hi:[1,0,0] neg_lo:[0,0,1] neg_hi:[0,0,1]
	v_pk_fma_f32 v[250:251], v[170:171], s[6:7], v[248:249] op_sel:[0,0,1] op_sel_hi:[1,0,0]
	v_pk_fma_f32 v[248:249], v[170:171], s[6:7], v[248:249] op_sel:[0,0,1] op_sel_hi:[1,0,0] neg_lo:[0,0,1] neg_hi:[0,0,1]
	v_mov_b32_e32 v252, v250
	v_mov_b32_e32 v253, v249
	v_pk_add_f32 v[230:231], v[252:253], v[230:231]
	v_pk_mul_f32 v[252:253], v[156:157], s[24:25] op_sel_hi:[1,0]
	v_mov_b32_e32 v124, v126
	v_pk_fma_f32 v[206:207], v[154:155], s[18:19], v[252:253] op_sel:[0,0,1] op_sel_hi:[1,0,0]
	v_pk_fma_f32 v[252:253], v[154:155], s[18:19], v[252:253] op_sel:[0,0,1] op_sel_hi:[1,0,0] neg_lo:[0,0,1] neg_hi:[0,0,1]
	v_mov_b32_e32 v254, v206
	v_mov_b32_e32 v255, v253
	v_pk_add_f32 v[254:255], v[100:101], v[254:255]
	v_mov_b32_e32 v125, v189
	v_pk_add_f32 v[124:125], v[124:125], v[254:255]
	v_pk_mul_f32 v[254:255], v[164:165], s[22:23] op_sel_hi:[1,0]
	v_pk_mul_f32 v[160:161], v[160:161], s[36:37] op_sel_hi:[1,0]
	v_pk_fma_f32 v[130:131], v[162:163], s[6:7], v[254:255] op_sel:[0,0,1] op_sel_hi:[1,0,0]
	v_pk_fma_f32 v[254:255], v[162:163], s[6:7], v[254:255] op_sel:[0,0,1] op_sel_hi:[1,0,0] neg_lo:[0,0,1] neg_hi:[0,0,1]
	v_mov_b32_e32 v128, v130
	v_mov_b32_e32 v129, v255
	v_pk_add_f32 v[124:125], v[128:129], v[124:125]
	v_pk_mul_f32 v[128:129], v[26:27], s[42:43] op_sel_hi:[1,0]
	v_pk_mul_f32 v[26:27], v[26:27], s[40:41] op_sel_hi:[1,0]
	v_pk_fma_f32 v[190:191], v[166:167], s[26:27], v[128:129] op_sel:[0,0,1] op_sel_hi:[1,0,0]
	v_pk_fma_f32 v[128:129], v[166:167], s[26:27], v[128:129] op_sel:[0,0,1] op_sel_hi:[1,0,0] neg_lo:[0,0,1] neg_hi:[0,0,1]
	v_mov_b32_e32 v132, v190
	;; [unrolled: 7-line block ×4, first 2 shown]
	v_mov_b32_e32 v199, v195
	v_pk_add_f32 v[124:125], v[198:199], v[124:125]
	ds_write2_b64 v137, v[230:231], v[124:125] offset0:16 offset1:20
	v_pk_mul_f32 v[124:125], v[156:157], s[28:29] op_sel_hi:[1,0]
	v_pk_fma_f32 v[198:199], v[158:159], s[0:1], v[160:161] op_sel:[0,0,1] op_sel_hi:[1,0,0]
	v_pk_fma_f32 v[156:157], v[154:155], s[26:27], v[124:125] op_sel:[0,0,1] op_sel_hi:[1,0,0]
	v_pk_fma_f32 v[124:125], v[154:155], s[26:27], v[124:125] op_sel:[0,0,1] op_sel_hi:[1,0,0] neg_lo:[0,0,1] neg_hi:[0,0,1]
	v_mov_b32_e32 v154, v156
	v_mov_b32_e32 v155, v125
	v_pk_fma_f32 v[158:159], v[158:159], s[0:1], v[160:161] op_sel:[0,0,1] op_sel_hi:[1,0,0] neg_lo:[0,0,1] neg_hi:[0,0,1]
	v_pk_add_f32 v[154:155], v[100:101], v[154:155]
	v_mov_b32_e32 v160, v198
	v_mov_b32_e32 v161, v159
	v_pk_add_f32 v[154:155], v[160:161], v[154:155]
	v_pk_mul_f32 v[160:161], v[164:165], s[24:25] op_sel_hi:[1,0]
	v_mov_b32_e32 v125, v157
	v_pk_fma_f32 v[164:165], v[162:163], s[18:19], v[160:161] op_sel:[0,0,1] op_sel_hi:[1,0,0]
	v_pk_fma_f32 v[160:161], v[162:163], s[18:19], v[160:161] op_sel:[0,0,1] op_sel_hi:[1,0,0] neg_lo:[0,0,1] neg_hi:[0,0,1]
	v_mov_b32_e32 v162, v164
	v_mov_b32_e32 v163, v161
	v_pk_add_f32 v[154:155], v[162:163], v[154:155]
	v_pk_fma_f32 v[162:163], v[166:167], s[6:7], v[26:27] op_sel:[0,0,1] op_sel_hi:[1,0,0]
	v_pk_fma_f32 v[26:27], v[166:167], s[6:7], v[26:27] op_sel:[0,0,1] op_sel_hi:[1,0,0] neg_lo:[0,0,1] neg_hi:[0,0,1]
	v_mov_b32_e32 v166, v162
	v_mov_b32_e32 v167, v27
	v_pk_add_f32 v[124:125], v[100:101], v[124:125]
	v_mov_b32_e32 v159, v199
	v_pk_add_f32 v[154:155], v[166:167], v[154:155]
	v_pk_fma_f32 v[166:167], v[168:169], s[16:17], v[28:29] op_sel:[0,0,1] op_sel_hi:[1,0,0]
	v_pk_fma_f32 v[28:29], v[168:169], s[16:17], v[28:29] op_sel:[0,0,1] op_sel_hi:[1,0,0] neg_lo:[0,0,1] neg_hi:[0,0,1]
	v_pk_add_f32 v[124:125], v[158:159], v[124:125]
	v_mov_b32_e32 v161, v165
	v_mov_b32_e32 v168, v166
	;; [unrolled: 1-line block ×3, first 2 shown]
	v_pk_add_f32 v[124:125], v[160:161], v[124:125]
	v_mov_b32_e32 v27, v163
	v_pk_add_f32 v[154:155], v[168:169], v[154:155]
	v_pk_fma_f32 v[168:169], v[170:171], s[14:15], v[30:31] op_sel:[0,0,1] op_sel_hi:[1,0,0]
	v_pk_fma_f32 v[30:31], v[170:171], s[14:15], v[30:31] op_sel:[0,0,1] op_sel_hi:[1,0,0] neg_lo:[0,0,1] neg_hi:[0,0,1]
	v_pk_add_f32 v[26:27], v[26:27], v[124:125]
	v_mov_b32_e32 v29, v167
	v_mov_b32_e32 v170, v168
	;; [unrolled: 1-line block ×3, first 2 shown]
	v_pk_add_f32 v[26:27], v[28:29], v[26:27]
	v_mov_b32_e32 v31, v169
	v_pk_add_f32 v[154:155], v[170:171], v[154:155]
	v_pk_add_f32 v[26:27], v[30:31], v[26:27]
	v_mov_b32_e32 v253, v207
	v_mov_b32_e32 v25, v209
	ds_write2_b64 v137, v[154:155], v[26:27] offset0:24 offset1:28
	v_pk_add_f32 v[26:27], v[100:101], v[252:253]
	v_mov_b32_e32 v189, v127
	v_pk_add_f32 v[24:25], v[100:101], v[24:25]
	v_mov_b32_e32 v233, v235
	;; [unrolled: 2-line block ×10, first 2 shown]
	v_pk_add_f32 v[26:27], v[194:195], v[26:27]
	v_pk_add_f32 v[24:25], v[248:249], v[24:25]
	v_mov_b32_e32 v181, v185
	v_mov_b32_e32 v141, v139
	ds_write2_b64 v137, v[26:27], v[24:25] offset0:32 offset1:36
	v_pk_add_f32 v[24:25], v[100:101], v[180:181]
	v_mov_b32_e32 v211, v213
	v_pk_add_f32 v[26:27], v[100:101], v[140:141]
	v_mov_b32_e32 v145, v143
	;; [unrolled: 2-line block ×10, first 2 shown]
	v_pk_add_f32 v[24:25], v[226:227], v[24:25]
	v_pk_add_f32 v[26:27], v[176:177], v[26:27]
	v_mov_b32_e32 v105, v103
	ds_write2_b64 v137, v[24:25], v[26:27] offset0:40 offset1:44
	v_pk_add_f32 v[24:25], v[100:101], v[104:105]
	v_mov_b32_e32 v109, v107
	v_pk_add_f32 v[24:25], v[108:109], v[24:25]
	v_mov_b32_e32 v113, v111
	;; [unrolled: 2-line block ×5, first 2 shown]
	v_mov_b32_e32 v56, v57
	v_accvgpr_write_b32 a50, v58
	v_accvgpr_write_b32 a51, v58
	v_mov_b32_e32 v58, v59
	v_mov_b32_e32 v204, v80
	;; [unrolled: 1-line block ×10, first 2 shown]
	v_accvgpr_write_b32 a74, v78
	v_accvgpr_write_b32 a75, v78
	v_mov_b32_e32 v78, v79
	v_mov_b32_e32 v196, v72
	;; [unrolled: 1-line block ×4, first 2 shown]
	v_accvgpr_write_b32 a66, v74
	v_accvgpr_write_b32 a67, v74
	v_mov_b32_e32 v74, v75
	v_mov_b32_e32 v68, v69
	v_accvgpr_write_b32 a62, v70
	v_accvgpr_write_b32 a63, v70
	v_mov_b32_e32 v70, v71
	v_mov_b32_e32 v64, v65
	;; [unrolled: 4-line block ×3, first 2 shown]
	v_accvgpr_write_b32 a54, v62
	v_accvgpr_write_b32 a55, v62
	v_mov_b32_e32 v62, v63
	v_pk_add_f32 v[24:25], v[134:135], v[24:25]
	ds_write_b64 v137, v[24:25] offset:384
	s_and_saveexec_b64 s[48:49], s[2:3]
	s_cbranch_execz .LBB0_29
; %bb.28:
	v_accvgpr_read_b32 v119, a69
	v_accvgpr_read_b32 v123, a73
	;; [unrolled: 1-line block ×5, first 2 shown]
	v_mul_u32_u24_e32 v116, 52, v116
	v_accvgpr_read_b32 v117, a27
	v_pk_mul_f32 v[26:27], v[18:19], v[118:119] op_sel:[0,1]
	v_accvgpr_read_b32 v121, a71
	v_accvgpr_read_b32 v120, a70
	v_pk_mul_f32 v[30:31], v[16:17], v[122:123] op_sel:[0,1]
	v_accvgpr_read_b32 v127, a49
	v_or_b32_e32 v116, v116, v117
	v_pk_mul_f32 v[102:103], v[22:23], v[120:121] op_sel:[0,1]
	v_accvgpr_read_b32 v126, a48
	v_lshlrev_b32_e32 v137, 3, v116
	v_pk_fma_f32 v[116:117], v[18:19], v[118:119], v[26:27] op_sel:[0,0,1] op_sel_hi:[1,1,0]
	v_pk_fma_f32 v[18:19], v[18:19], v[118:119], v[26:27] op_sel:[0,0,1] op_sel_hi:[1,0,0] neg_lo:[1,0,0] neg_hi:[1,0,0]
	v_pk_fma_f32 v[26:27], v[16:17], v[122:123], v[30:31] op_sel:[0,0,1] op_sel_hi:[1,1,0]
	v_pk_fma_f32 v[16:17], v[16:17], v[122:123], v[30:31] op_sel:[0,0,1] op_sel_hi:[1,0,0] neg_lo:[1,0,0] neg_hi:[1,0,0]
	v_pk_mul_f32 v[104:105], v[2:3], v[92:93] op_sel:[0,1]
	v_accvgpr_read_b32 v125, a47
	v_accvgpr_read_b32 v124, a46
	v_pk_mul_f32 v[106:107], v[20:21], v[126:127] op_sel:[0,1]
	v_mov_b32_e32 v27, v17
	v_pk_fma_f32 v[30:31], v[22:23], v[120:121], v[102:103] op_sel:[0,0,1] op_sel_hi:[1,1,0]
	v_pk_fma_f32 v[16:17], v[22:23], v[120:121], v[102:103] op_sel:[0,0,1] op_sel_hi:[1,0,0] neg_lo:[1,0,0] neg_hi:[1,0,0]
	v_pk_mul_f32 v[110:111], v[10:11], v[124:125] op_sel:[0,1]
	v_mov_b32_e32 v31, v17
	v_pk_fma_f32 v[102:103], v[20:21], v[126:127], v[106:107] op_sel:[0,0,1] op_sel_hi:[1,1,0]
	v_pk_fma_f32 v[16:17], v[20:21], v[126:127], v[106:107] op_sel:[0,0,1] op_sel_hi:[1,0,0] neg_lo:[1,0,0] neg_hi:[1,0,0]
	v_pk_fma_f32 v[106:107], v[2:3], v[92:93], v[104:105] op_sel:[0,0,1] op_sel_hi:[1,1,0]
	v_pk_fma_f32 v[2:3], v[2:3], v[92:93], v[104:105] op_sel:[0,0,1] op_sel_hi:[1,0,0] neg_lo:[1,0,0] neg_hi:[1,0,0]
	v_pk_mul_f32 v[108:109], v[4:5], v[94:95] op_sel:[0,1]
	v_mov_b32_e32 v107, v3
	v_pk_fma_f32 v[92:93], v[10:11], v[124:125], v[110:111] op_sel:[0,0,1] op_sel_hi:[1,1,0]
	v_pk_fma_f32 v[2:3], v[10:11], v[124:125], v[110:111] op_sel:[0,0,1] op_sel_hi:[1,0,0] neg_lo:[1,0,0] neg_hi:[1,0,0]
	v_pk_mul_f32 v[114:115], v[8:9], v[98:99] op_sel:[0,1]
	v_mov_b32_e32 v93, v3
	;; [unrolled: 4-line block ×4, first 2 shown]
	v_pk_fma_f32 v[98:99], v[6:7], v[96:97], v[112:113] op_sel:[0,0,1] op_sel_hi:[1,1,0]
	v_pk_fma_f32 v[2:3], v[6:7], v[96:97], v[112:113] op_sel:[0,0,1] op_sel_hi:[1,0,0] neg_lo:[1,0,0] neg_hi:[1,0,0]
	v_pk_fma_f32 v[4:5], v[12:13], v[86:87], v[24:25] op_sel:[0,0,1] op_sel_hi:[1,0,0] neg_lo:[1,0,0] neg_hi:[1,0,0]
	v_mov_b32_e32 v99, v3
	v_pk_fma_f32 v[2:3], v[12:13], v[86:87], v[24:25] op_sel:[0,0,1] op_sel_hi:[1,1,0]
	v_pk_mul_f32 v[28:29], v[14:15], v[88:89] op_sel:[0,1]
	v_mov_b32_e32 v117, v19
	v_mov_b32_e32 v3, v5
	v_pk_mul_f32 v[100:101], v[0:1], v[90:91] op_sel:[0,1]
	v_pk_fma_f32 v[24:25], v[14:15], v[88:89], v[28:29] op_sel:[0,0,1] op_sel_hi:[1,1,0]
	v_pk_fma_f32 v[4:5], v[14:15], v[88:89], v[28:29] op_sel:[0,0,1] op_sel_hi:[1,0,0] neg_lo:[1,0,0] neg_hi:[1,0,0]
	v_pk_add_f32 v[88:89], v[2:3], v[116:117] neg_lo:[0,1] neg_hi:[0,1]
	v_mov_b32_e32 v25, v5
	v_pk_fma_f32 v[28:29], v[0:1], v[90:91], v[100:101] op_sel:[0,0,1] op_sel_hi:[1,1,0]
	v_pk_fma_f32 v[0:1], v[0:1], v[90:91], v[100:101] op_sel:[0,0,1] op_sel_hi:[1,0,0] neg_lo:[1,0,0] neg_hi:[1,0,0]
	v_pk_add_f32 v[86:87], v[2:3], v[84:85]
	v_pk_add_f32 v[90:91], v[116:117], v[2:3]
	v_pk_mul_f32 v[2:3], v[88:89], s[44:45] op_sel_hi:[1,0]
	v_mov_b32_e32 v29, v1
	v_pk_add_f32 v[96:97], v[24:25], v[26:27] neg_lo:[0,1] neg_hi:[0,1]
	v_pk_fma_f32 v[0:1], v[90:91], s[0:1], v[2:3] op_sel:[0,0,1] op_sel_hi:[1,0,0]
	v_pk_fma_f32 v[2:3], v[90:91], s[0:1], v[2:3] op_sel:[0,0,1] op_sel_hi:[1,0,0] neg_lo:[0,0,1] neg_hi:[0,0,1]
	v_pk_add_f32 v[100:101], v[26:27], v[24:25]
	v_mov_b32_e32 v4, v0
	v_mov_b32_e32 v5, v3
	v_pk_mul_f32 v[6:7], v[96:97], s[22:23] op_sel_hi:[1,0]
	v_pk_add_f32 v[8:9], v[84:85], v[4:5]
	v_pk_fma_f32 v[4:5], v[100:101], s[6:7], v[6:7] op_sel:[0,0,1] op_sel_hi:[1,0,0]
	v_pk_fma_f32 v[6:7], v[100:101], s[6:7], v[6:7] op_sel:[0,0,1] op_sel_hi:[1,0,0] neg_lo:[0,0,1] neg_hi:[0,0,1]
	v_pk_add_f32 v[108:109], v[28:29], v[30:31] neg_lo:[0,1] neg_hi:[0,1]
	v_mov_b32_e32 v10, v4
	v_mov_b32_e32 v11, v7
	v_pk_add_f32 v[110:111], v[30:31], v[28:29]
	v_pk_add_f32 v[12:13], v[10:11], v[8:9]
	v_pk_mul_f32 v[10:11], v[108:109], s[30:31] op_sel_hi:[1,0]
	v_mov_b32_e32 v103, v17
	v_pk_fma_f32 v[8:9], v[110:111], s[14:15], v[10:11] op_sel:[0,0,1] op_sel_hi:[1,0,0]
	v_pk_fma_f32 v[10:11], v[110:111], s[14:15], v[10:11] op_sel:[0,0,1] op_sel_hi:[1,0,0] neg_lo:[0,0,1] neg_hi:[0,0,1]
	v_pk_add_f32 v[112:113], v[106:107], v[102:103] neg_lo:[0,1] neg_hi:[0,1]
	v_mov_b32_e32 v14, v8
	v_mov_b32_e32 v15, v11
	v_pk_add_f32 v[24:25], v[24:25], v[86:87]
	v_pk_add_f32 v[114:115], v[102:103], v[106:107]
	v_pk_add_f32 v[16:17], v[14:15], v[12:13]
	v_pk_mul_f32 v[14:15], v[112:113], s[20:21] op_sel_hi:[1,0]
	v_pk_add_f32 v[24:25], v[28:29], v[24:25]
	v_pk_fma_f32 v[12:13], v[114:115], s[16:17], v[14:15] op_sel:[0,0,1] op_sel_hi:[1,0,0]
	v_pk_fma_f32 v[14:15], v[114:115], s[16:17], v[14:15] op_sel:[0,0,1] op_sel_hi:[1,0,0] neg_lo:[0,0,1] neg_hi:[0,0,1]
	v_pk_add_f32 v[24:25], v[106:107], v[24:25]
	v_pk_add_f32 v[118:119], v[104:105], v[92:93] neg_lo:[0,1] neg_hi:[0,1]
	v_mov_b32_e32 v18, v12
	v_mov_b32_e32 v19, v15
	v_pk_add_f32 v[24:25], v[104:105], v[24:25]
	v_pk_add_f32 v[120:121], v[92:93], v[104:105]
	v_pk_add_f32 v[20:21], v[18:19], v[16:17]
	v_pk_mul_f32 v[18:19], v[118:119], s[24:25] op_sel_hi:[1,0]
	v_pk_add_f32 v[24:25], v[98:99], v[24:25]
	v_pk_fma_f32 v[16:17], v[120:121], s[18:19], v[18:19] op_sel:[0,0,1] op_sel_hi:[1,0,0]
	v_pk_fma_f32 v[18:19], v[120:121], s[18:19], v[18:19] op_sel:[0,0,1] op_sel_hi:[1,0,0] neg_lo:[0,0,1] neg_hi:[0,0,1]
	v_pk_add_f32 v[24:25], v[94:95], v[24:25]
	;; [unrolled: 11-line block ×3, first 2 shown]
	v_mov_b32_e32 v128, v20
	v_mov_b32_e32 v129, v23
	v_pk_add_f32 v[24:25], v[26:27], v[24:25]
	v_pk_add_f32 v[126:127], v[128:129], v[126:127]
	;; [unrolled: 1-line block ×3, first 2 shown]
	v_pk_mul_f32 v[26:27], v[88:89], s[22:23] op_sel_hi:[1,0]
	ds_write2_b64 v137, v[24:25], v[126:127] offset1:4
	v_pk_fma_f32 v[24:25], v[90:91], s[6:7], v[26:27] op_sel:[0,0,1] op_sel_hi:[1,0,0]
	v_pk_fma_f32 v[26:27], v[90:91], s[6:7], v[26:27] op_sel:[0,0,1] op_sel_hi:[1,0,0] neg_lo:[0,0,1] neg_hi:[0,0,1]
	v_mov_b32_e32 v28, v24
	v_mov_b32_e32 v29, v27
	v_pk_mul_f32 v[30:31], v[96:97], s[20:21] op_sel_hi:[1,0]
	v_pk_add_f32 v[86:87], v[84:85], v[28:29]
	v_pk_fma_f32 v[28:29], v[100:101], s[16:17], v[30:31] op_sel:[0,0,1] op_sel_hi:[1,0,0]
	v_pk_fma_f32 v[30:31], v[100:101], s[16:17], v[30:31] op_sel:[0,0,1] op_sel_hi:[1,0,0] neg_lo:[0,0,1] neg_hi:[0,0,1]
	v_mov_b32_e32 v92, v28
	v_mov_b32_e32 v93, v31
	v_pk_add_f32 v[86:87], v[92:93], v[86:87]
	v_pk_mul_f32 v[92:93], v[108:109], s[28:29] op_sel_hi:[1,0]
	v_pk_mul_f32 v[134:135], v[96:97], s[28:29] op_sel_hi:[1,0]
	v_pk_fma_f32 v[94:95], v[110:111], s[26:27], v[92:93] op_sel:[0,0,1] op_sel_hi:[1,0,0]
	v_pk_fma_f32 v[92:93], v[110:111], s[26:27], v[92:93] op_sel:[0,0,1] op_sel_hi:[1,0,0] neg_lo:[0,0,1] neg_hi:[0,0,1]
	v_mov_b32_e32 v98, v94
	v_mov_b32_e32 v99, v93
	v_pk_add_f32 v[86:87], v[98:99], v[86:87]
	v_pk_mul_f32 v[98:99], v[112:113], s[38:39] op_sel_hi:[1,0]
	v_pk_fma_f32 v[138:139], v[100:101], s[26:27], v[134:135] op_sel:[0,0,1] op_sel_hi:[1,0,0]
	v_pk_fma_f32 v[102:103], v[114:115], s[18:19], v[98:99] op_sel:[0,0,1] op_sel_hi:[1,0,0]
	v_pk_fma_f32 v[98:99], v[114:115], s[18:19], v[98:99] op_sel:[0,0,1] op_sel_hi:[1,0,0] neg_lo:[0,0,1] neg_hi:[0,0,1]
	v_mov_b32_e32 v104, v102
	v_mov_b32_e32 v105, v99
	v_pk_add_f32 v[86:87], v[104:105], v[86:87]
	v_pk_mul_f32 v[104:105], v[118:119], s[34:35] op_sel_hi:[1,0]
	v_pk_fma_f32 v[134:135], v[100:101], s[26:27], v[134:135] op_sel:[0,0,1] op_sel_hi:[1,0,0] neg_lo:[0,0,1] neg_hi:[0,0,1]
	v_pk_fma_f32 v[106:107], v[120:121], s[14:15], v[104:105] op_sel:[0,0,1] op_sel_hi:[1,0,0]
	v_pk_fma_f32 v[104:105], v[120:121], s[14:15], v[104:105] op_sel:[0,0,1] op_sel_hi:[1,0,0] neg_lo:[0,0,1] neg_hi:[0,0,1]
	v_mov_b32_e32 v116, v106
	v_mov_b32_e32 v117, v105
	v_pk_add_f32 v[86:87], v[116:117], v[86:87]
	v_pk_mul_f32 v[116:117], v[122:123], s[36:37] op_sel_hi:[1,0]
	v_mov_b32_e32 v140, v138
	v_pk_fma_f32 v[126:127], v[124:125], s[0:1], v[116:117] op_sel:[0,0,1] op_sel_hi:[1,0,0]
	v_pk_fma_f32 v[116:117], v[124:125], s[0:1], v[116:117] op_sel:[0,0,1] op_sel_hi:[1,0,0] neg_lo:[0,0,1] neg_hi:[0,0,1]
	v_mov_b32_e32 v128, v126
	v_mov_b32_e32 v129, v117
	v_pk_add_f32 v[86:87], v[128:129], v[86:87]
	v_pk_mul_f32 v[128:129], v[88:89], s[30:31] op_sel_hi:[1,0]
	v_mov_b32_e32 v141, v135
	v_pk_fma_f32 v[130:131], v[90:91], s[14:15], v[128:129] op_sel:[0,0,1] op_sel_hi:[1,0,0]
	v_pk_fma_f32 v[128:129], v[90:91], s[14:15], v[128:129] op_sel:[0,0,1] op_sel_hi:[1,0,0] neg_lo:[0,0,1] neg_hi:[0,0,1]
	v_mov_b32_e32 v132, v130
	v_mov_b32_e32 v133, v129
	v_pk_add_f32 v[132:133], v[84:85], v[132:133]
	v_pk_mul_f32 v[158:159], v[96:97], s[38:39] op_sel_hi:[1,0]
	v_pk_add_f32 v[132:133], v[140:141], v[132:133]
	v_pk_mul_f32 v[140:141], v[108:109], s[46:47] op_sel_hi:[1,0]
	v_pk_fma_f32 v[160:161], v[100:101], s[18:19], v[158:159] op_sel:[0,0,1] op_sel_hi:[1,0,0]
	v_pk_fma_f32 v[142:143], v[110:111], s[16:17], v[140:141] op_sel:[0,0,1] op_sel_hi:[1,0,0]
	v_pk_fma_f32 v[140:141], v[110:111], s[16:17], v[140:141] op_sel:[0,0,1] op_sel_hi:[1,0,0] neg_lo:[0,0,1] neg_hi:[0,0,1]
	v_mov_b32_e32 v144, v142
	v_mov_b32_e32 v145, v141
	v_pk_add_f32 v[132:133], v[144:145], v[132:133]
	v_pk_mul_f32 v[144:145], v[112:113], s[36:37] op_sel_hi:[1,0]
	v_pk_fma_f32 v[158:159], v[100:101], s[18:19], v[158:159] op_sel:[0,0,1] op_sel_hi:[1,0,0] neg_lo:[0,0,1] neg_hi:[0,0,1]
	v_pk_fma_f32 v[146:147], v[114:115], s[0:1], v[144:145] op_sel:[0,0,1] op_sel_hi:[1,0,0]
	v_pk_fma_f32 v[144:145], v[114:115], s[0:1], v[144:145] op_sel:[0,0,1] op_sel_hi:[1,0,0] neg_lo:[0,0,1] neg_hi:[0,0,1]
	v_mov_b32_e32 v148, v146
	v_mov_b32_e32 v149, v145
	v_pk_add_f32 v[132:133], v[148:149], v[132:133]
	v_pk_mul_f32 v[148:149], v[118:119], s[22:23] op_sel_hi:[1,0]
	v_mov_b32_e32 v162, v160
	v_pk_fma_f32 v[150:151], v[120:121], s[6:7], v[148:149] op_sel:[0,0,1] op_sel_hi:[1,0,0]
	v_pk_fma_f32 v[148:149], v[120:121], s[6:7], v[148:149] op_sel:[0,0,1] op_sel_hi:[1,0,0] neg_lo:[0,0,1] neg_hi:[0,0,1]
	v_mov_b32_e32 v152, v150
	v_mov_b32_e32 v153, v149
	v_pk_add_f32 v[132:133], v[152:153], v[132:133]
	v_pk_mul_f32 v[152:153], v[122:123], s[24:25] op_sel_hi:[1,0]
	v_mov_b32_e32 v163, v159
	v_pk_fma_f32 v[154:155], v[124:125], s[18:19], v[152:153] op_sel:[0,0,1] op_sel_hi:[1,0,0]
	v_pk_fma_f32 v[152:153], v[124:125], s[18:19], v[152:153] op_sel:[0,0,1] op_sel_hi:[1,0,0] neg_lo:[0,0,1] neg_hi:[0,0,1]
	v_mov_b32_e32 v156, v154
	v_mov_b32_e32 v157, v153
	v_pk_add_f32 v[132:133], v[156:157], v[132:133]
	ds_write2_b64 v137, v[86:87], v[132:133] offset0:8 offset1:12
	v_pk_mul_f32 v[86:87], v[88:89], s[20:21] op_sel_hi:[1,0]
	v_pk_mul_f32 v[184:185], v[96:97], s[34:35] op_sel_hi:[1,0]
	v_pk_fma_f32 v[132:133], v[90:91], s[16:17], v[86:87] op_sel:[0,0,1] op_sel_hi:[1,0,0]
	v_pk_fma_f32 v[86:87], v[90:91], s[16:17], v[86:87] op_sel:[0,0,1] op_sel_hi:[1,0,0] neg_lo:[0,0,1] neg_hi:[0,0,1]
	v_mov_b32_e32 v156, v132
	v_mov_b32_e32 v157, v87
	v_pk_add_f32 v[156:157], v[84:85], v[156:157]
	v_pk_fma_f32 v[188:189], v[100:101], s[14:15], v[184:185] op_sel:[0,0,1] op_sel_hi:[1,0,0]
	v_pk_add_f32 v[156:157], v[162:163], v[156:157]
	v_pk_mul_f32 v[162:163], v[108:109], s[36:37] op_sel_hi:[1,0]
	v_pk_fma_f32 v[184:185], v[100:101], s[14:15], v[184:185] op_sel:[0,0,1] op_sel_hi:[1,0,0] neg_lo:[0,0,1] neg_hi:[0,0,1]
	v_pk_fma_f32 v[164:165], v[110:111], s[0:1], v[162:163] op_sel:[0,0,1] op_sel_hi:[1,0,0]
	v_pk_fma_f32 v[162:163], v[110:111], s[0:1], v[162:163] op_sel:[0,0,1] op_sel_hi:[1,0,0] neg_lo:[0,0,1] neg_hi:[0,0,1]
	v_mov_b32_e32 v166, v164
	v_mov_b32_e32 v167, v163
	v_pk_add_f32 v[156:157], v[166:167], v[156:157]
	v_pk_mul_f32 v[166:167], v[112:113], s[30:31] op_sel_hi:[1,0]
	v_mov_b32_e32 v190, v188
	v_pk_fma_f32 v[168:169], v[114:115], s[14:15], v[166:167] op_sel:[0,0,1] op_sel_hi:[1,0,0]
	v_pk_fma_f32 v[166:167], v[114:115], s[14:15], v[166:167] op_sel:[0,0,1] op_sel_hi:[1,0,0] neg_lo:[0,0,1] neg_hi:[0,0,1]
	v_mov_b32_e32 v170, v168
	v_mov_b32_e32 v171, v167
	v_pk_add_f32 v[156:157], v[170:171], v[156:157]
	v_pk_mul_f32 v[170:171], v[118:119], s[42:43] op_sel_hi:[1,0]
	v_mov_b32_e32 v191, v185
	v_pk_fma_f32 v[172:173], v[120:121], s[26:27], v[170:171] op_sel:[0,0,1] op_sel_hi:[1,0,0]
	v_pk_fma_f32 v[170:171], v[120:121], s[26:27], v[170:171] op_sel:[0,0,1] op_sel_hi:[1,0,0] neg_lo:[0,0,1] neg_hi:[0,0,1]
	v_mov_b32_e32 v174, v172
	v_mov_b32_e32 v175, v171
	v_pk_add_f32 v[156:157], v[174:175], v[156:157]
	v_pk_mul_f32 v[174:175], v[122:123], s[40:41] op_sel_hi:[1,0]
	v_pk_mul_f32 v[96:97], v[96:97], s[36:37] op_sel_hi:[1,0]
	v_pk_fma_f32 v[176:177], v[124:125], s[6:7], v[174:175] op_sel:[0,0,1] op_sel_hi:[1,0,0]
	v_pk_fma_f32 v[174:175], v[124:125], s[6:7], v[174:175] op_sel:[0,0,1] op_sel_hi:[1,0,0] neg_lo:[0,0,1] neg_hi:[0,0,1]
	v_mov_b32_e32 v178, v176
	v_mov_b32_e32 v179, v175
	v_pk_add_f32 v[156:157], v[178:179], v[156:157]
	v_pk_mul_f32 v[178:179], v[88:89], s[24:25] op_sel_hi:[1,0]
	v_pk_mul_f32 v[88:89], v[88:89], s[28:29] op_sel_hi:[1,0]
	v_pk_fma_f32 v[180:181], v[90:91], s[18:19], v[178:179] op_sel:[0,0,1] op_sel_hi:[1,0,0]
	v_pk_fma_f32 v[178:179], v[90:91], s[18:19], v[178:179] op_sel:[0,0,1] op_sel_hi:[1,0,0] neg_lo:[0,0,1] neg_hi:[0,0,1]
	v_mov_b32_e32 v182, v180
	v_mov_b32_e32 v183, v179
	v_pk_add_f32 v[182:183], v[84:85], v[182:183]
	v_mov_b32_e32 v179, v181
	v_pk_add_f32 v[182:183], v[190:191], v[182:183]
	v_pk_mul_f32 v[190:191], v[108:109], s[22:23] op_sel_hi:[1,0]
	v_pk_mul_f32 v[108:109], v[108:109], s[24:25] op_sel_hi:[1,0]
	v_pk_fma_f32 v[192:193], v[110:111], s[6:7], v[190:191] op_sel:[0,0,1] op_sel_hi:[1,0,0]
	v_pk_fma_f32 v[190:191], v[110:111], s[6:7], v[190:191] op_sel:[0,0,1] op_sel_hi:[1,0,0] neg_lo:[0,0,1] neg_hi:[0,0,1]
	v_mov_b32_e32 v194, v192
	v_mov_b32_e32 v195, v191
	v_pk_add_f32 v[182:183], v[194:195], v[182:183]
	v_pk_mul_f32 v[194:195], v[112:113], s[42:43] op_sel_hi:[1,0]
	v_pk_mul_f32 v[112:113], v[112:113], s[40:41] op_sel_hi:[1,0]
	v_pk_fma_f32 v[198:199], v[114:115], s[26:27], v[194:195] op_sel:[0,0,1] op_sel_hi:[1,0,0]
	v_pk_fma_f32 v[194:195], v[114:115], s[26:27], v[194:195] op_sel:[0,0,1] op_sel_hi:[1,0,0] neg_lo:[0,0,1] neg_hi:[0,0,1]
	v_mov_b32_e32 v206, v198
	;; [unrolled: 7-line block ×4, first 2 shown]
	v_mov_b32_e32 v215, v211
	v_pk_add_f32 v[182:183], v[214:215], v[182:183]
	ds_write2_b64 v137, v[156:157], v[182:183] offset0:16 offset1:20
	v_pk_fma_f32 v[156:157], v[90:91], s[26:27], v[88:89] op_sel:[0,0,1] op_sel_hi:[1,0,0]
	v_pk_fma_f32 v[88:89], v[90:91], s[26:27], v[88:89] op_sel:[0,0,1] op_sel_hi:[1,0,0] neg_lo:[0,0,1] neg_hi:[0,0,1]
	v_mov_b32_e32 v90, v156
	v_mov_b32_e32 v91, v89
	v_pk_fma_f32 v[182:183], v[100:101], s[0:1], v[96:97] op_sel:[0,0,1] op_sel_hi:[1,0,0]
	v_pk_fma_f32 v[96:97], v[100:101], s[0:1], v[96:97] op_sel:[0,0,1] op_sel_hi:[1,0,0] neg_lo:[0,0,1] neg_hi:[0,0,1]
	v_pk_add_f32 v[90:91], v[84:85], v[90:91]
	v_mov_b32_e32 v100, v182
	v_mov_b32_e32 v101, v97
	v_pk_add_f32 v[90:91], v[100:101], v[90:91]
	v_pk_fma_f32 v[100:101], v[110:111], s[18:19], v[108:109] op_sel:[0,0,1] op_sel_hi:[1,0,0]
	v_pk_fma_f32 v[108:109], v[110:111], s[18:19], v[108:109] op_sel:[0,0,1] op_sel_hi:[1,0,0] neg_lo:[0,0,1] neg_hi:[0,0,1]
	v_mov_b32_e32 v110, v100
	v_mov_b32_e32 v111, v109
	v_pk_add_f32 v[90:91], v[110:111], v[90:91]
	v_pk_fma_f32 v[110:111], v[114:115], s[6:7], v[112:113] op_sel:[0,0,1] op_sel_hi:[1,0,0]
	v_pk_fma_f32 v[112:113], v[114:115], s[6:7], v[112:113] op_sel:[0,0,1] op_sel_hi:[1,0,0] neg_lo:[0,0,1] neg_hi:[0,0,1]
	v_mov_b32_e32 v89, v157
	v_mov_b32_e32 v114, v110
	;; [unrolled: 1-line block ×3, first 2 shown]
	v_pk_add_f32 v[88:89], v[84:85], v[88:89]
	v_mov_b32_e32 v97, v183
	v_pk_add_f32 v[90:91], v[114:115], v[90:91]
	v_pk_fma_f32 v[114:115], v[120:121], s[16:17], v[118:119] op_sel:[0,0,1] op_sel_hi:[1,0,0]
	v_pk_fma_f32 v[118:119], v[120:121], s[16:17], v[118:119] op_sel:[0,0,1] op_sel_hi:[1,0,0] neg_lo:[0,0,1] neg_hi:[0,0,1]
	v_pk_add_f32 v[88:89], v[96:97], v[88:89]
	v_mov_b32_e32 v109, v101
	v_mov_b32_e32 v120, v114
	;; [unrolled: 1-line block ×3, first 2 shown]
	v_pk_add_f32 v[88:89], v[108:109], v[88:89]
	v_mov_b32_e32 v113, v111
	v_pk_add_f32 v[90:91], v[120:121], v[90:91]
	v_pk_fma_f32 v[120:121], v[124:125], s[14:15], v[122:123] op_sel:[0,0,1] op_sel_hi:[1,0,0]
	v_pk_fma_f32 v[122:123], v[124:125], s[14:15], v[122:123] op_sel:[0,0,1] op_sel_hi:[1,0,0] neg_lo:[0,0,1] neg_hi:[0,0,1]
	v_pk_add_f32 v[88:89], v[112:113], v[88:89]
	v_mov_b32_e32 v119, v115
	v_mov_b32_e32 v124, v120
	;; [unrolled: 1-line block ×3, first 2 shown]
	v_pk_add_f32 v[88:89], v[118:119], v[88:89]
	v_mov_b32_e32 v123, v121
	v_pk_add_f32 v[90:91], v[124:125], v[90:91]
	v_pk_add_f32 v[88:89], v[122:123], v[88:89]
	v_mov_b32_e32 v87, v133
	ds_write2_b64 v137, v[90:91], v[88:89] offset0:24 offset1:28
	v_pk_add_f32 v[88:89], v[84:85], v[178:179]
	v_mov_b32_e32 v185, v189
	v_pk_add_f32 v[86:87], v[84:85], v[86:87]
	v_mov_b32_e32 v159, v161
	;; [unrolled: 2-line block ×10, first 2 shown]
	v_pk_add_f32 v[88:89], v[210:211], v[88:89]
	v_pk_add_f32 v[86:87], v[174:175], v[86:87]
	v_mov_b32_e32 v129, v131
	v_mov_b32_e32 v27, v25
	;; [unrolled: 1-line block ×3, first 2 shown]
	ds_write2_b64 v137, v[88:89], v[86:87] offset0:32 offset1:36
	v_pk_add_f32 v[86:87], v[84:85], v[128:129]
	v_mov_b32_e32 v135, v139
	v_pk_add_f32 v[24:25], v[84:85], v[26:27]
	v_mov_b32_e32 v31, v29
	;; [unrolled: 2-line block ×15, first 2 shown]
	v_pk_add_f32 v[86:87], v[152:153], v[86:87]
	v_pk_add_f32 v[24:25], v[116:117], v[24:25]
	;; [unrolled: 1-line block ×3, first 2 shown]
	ds_write2_b64 v137, v[86:87], v[24:25] offset0:40 offset1:44
	ds_write_b64 v137, v[0:1] offset:384
.LBB0_29:
	s_or_b64 exec, exec, s[48:49]
	v_add_u32_e32 v85, 0x800, v136
	v_add_u32_e32 v86, 0x1400, v136
	;; [unrolled: 1-line block ×4, first 2 shown]
	s_waitcnt lgkmcnt(0)
	; wave barrier
	s_waitcnt lgkmcnt(0)
	ds_read2_b64 v[0:3], v136 offset0:104 offset1:156
	ds_read2_b64 v[90:93], v85 offset0:56 offset1:108
	;; [unrolled: 1-line block ×5, first 2 shown]
	v_add_u32_e32 v88, 0x1000, v136
	ds_read2_b64 v[12:15], v85 offset0:160 offset1:212
	ds_read2_b64 v[102:105], v88 offset0:8 offset1:60
	;; [unrolled: 1-line block ×4, first 2 shown]
	ds_read_b64 v[20:21], v136 offset:8320
	v_mov_b32_e32 v18, v41
	s_waitcnt lgkmcnt(4)
	v_pk_mul_f32 v[112:113], v[18:19], v[14:15] op_sel:[0,1] op_sel_hi:[1,0]
	v_pk_mul_f32 v[18:19], v[40:41], v[14:15] op_sel:[0,1] op_sel_hi:[1,0]
	v_pk_mul_f32 v[110:111], v[40:41], v[14:15]
	v_mov_b32_e32 v18, v19
	v_pk_fma_f32 v[114:115], v[40:41], v[14:15], v[18:19] op_sel:[0,1,0] op_sel_hi:[1,0,1] neg_lo:[0,0,1] neg_hi:[0,0,1]
	v_mov_b32_e32 v14, v43
	s_waitcnt lgkmcnt(2)
	v_pk_mul_f32 v[118:119], v[14:15], v[106:107] op_sel:[0,1] op_sel_hi:[1,0]
	v_pk_mul_f32 v[14:15], v[42:43], v[106:107] op_sel:[0,1] op_sel_hi:[1,0]
	v_mov_b32_e32 v18, v55
	v_mov_b32_e32 v14, v15
	v_pk_fma_f32 v[120:121], v[42:43], v[106:107], v[14:15] op_sel:[0,1,0] op_sel_hi:[1,0,1] neg_lo:[0,0,1] neg_hi:[0,0,1]
	v_mul_f32_e32 v14, v49, v4
	v_pk_mul_f32 v[28:29], v[18:19], v[94:95] op_sel:[0,1] op_sel_hi:[1,0]
	v_pk_mul_f32 v[18:19], v[54:55], v[94:95] op_sel:[0,1] op_sel_hi:[1,0]
	v_fma_f32 v122, v48, v5, -v14
	v_mul_f32_e32 v14, v47, v100
	v_mov_b32_e32 v18, v19
	v_fma_f32 v128, v46, v101, -v14
	v_pk_mul_f32 v[26:27], v[54:55], v[94:95]
	v_pk_fma_f32 v[18:19], v[54:55], v[94:95], v[18:19] op_sel:[0,1,0] op_sel_hi:[1,0,1] neg_lo:[0,0,1] neg_hi:[0,0,1]
	v_pk_mul_f32 v[54:55], v[48:49], v[2:3] op_sel_hi:[1,0]
	v_add_f32_e32 v31, v122, v128
	v_mov_b32_e32 v30, v3
	v_pk_fma_f32 v[2:3], v[48:49], v[2:3], v[54:55] op_sel:[0,1,1] op_sel_hi:[1,1,0]
	v_pk_fma_f32 v[94:95], v[48:49], v[30:31], v[54:55] op_sel:[0,0,1] op_sel_hi:[1,1,0] neg_lo:[0,0,1] neg_hi:[0,0,1]
	v_mov_b32_e32 v2, v91
	v_pk_mul_f32 v[54:55], v[50:51], v[90:91] op_sel_hi:[1,0]
	v_mov_b32_e32 v95, v3
	v_pk_fma_f32 v[2:3], v[50:51], v[2:3], v[54:55] op_sel:[0,0,1] op_sel_hi:[1,1,0] neg_lo:[0,0,1] neg_hi:[0,0,1]
	v_pk_fma_f32 v[54:55], v[50:51], v[90:91], v[54:55] op_sel:[0,1,1] op_sel_hi:[1,1,0]
	v_mov_b32_e32 v30, v97
	v_mov_b32_e32 v3, v55
	v_pk_mul_f32 v[54:55], v[44:45], v[96:97] op_sel_hi:[1,0]
	v_pk_mul_f32 v[116:117], v[42:43], v[106:107]
	v_pk_fma_f32 v[90:91], v[44:45], v[30:31], v[54:55] op_sel:[0,0,1] op_sel_hi:[1,1,0] neg_lo:[0,0,1] neg_hi:[0,0,1]
	v_pk_fma_f32 v[54:55], v[44:45], v[96:97], v[54:55] op_sel:[0,1,1] op_sel_hi:[1,1,0]
	v_mov_b32_e32 v30, v99
	v_mov_b32_e32 v91, v55
	v_pk_mul_f32 v[54:55], v[46:47], v[98:99] op_sel_hi:[1,0]
	v_mov_b32_e32 v14, v53
	v_pk_fma_f32 v[96:97], v[46:47], v[30:31], v[54:55] op_sel:[0,0,1] op_sel_hi:[1,1,0] neg_lo:[0,0,1] neg_hi:[0,0,1]
	v_pk_fma_f32 v[54:55], v[46:47], v[98:99], v[54:55] op_sel:[0,1,1] op_sel_hi:[1,1,0]
	v_mov_b32_e32 v117, v94
	v_mov_b32_e32 v97, v55
	v_mov_b32_e32 v119, v96
	v_mov_b32_e32 v111, v2
	v_mov_b32_e32 v113, v90
	v_pk_mul_f32 v[24:25], v[14:15], v[104:105] op_sel:[0,1] op_sel_hi:[1,0]
	v_pk_mul_f32 v[14:15], v[52:53], v[104:105] op_sel:[0,1] op_sel_hi:[1,0]
	v_pk_add_f32 v[54:55], v[94:95], v[96:97]
	v_pk_add_f32 v[98:99], v[94:95], v[96:97] neg_lo:[0,1] neg_hi:[0,1]
	v_pk_add_f32 v[130:131], v[2:3], v[90:91]
	v_pk_add_f32 v[132:133], v[2:3], v[90:91] neg_lo:[0,1] neg_hi:[0,1]
	v_pk_add_f32 v[94:95], v[116:117], v[118:119]
	v_pk_add_f32 v[2:3], v[110:111], v[112:113]
	v_mov_b32_e32 v14, v15
	v_mov_b32_e32 v121, v94
	;; [unrolled: 1-line block ×3, first 2 shown]
	v_pk_mul_f32 v[22:23], v[52:53], v[104:105]
	v_pk_fma_f32 v[14:15], v[52:53], v[104:105], v[14:15] op_sel:[0,1,0] op_sel_hi:[1,0,1] neg_lo:[0,0,1] neg_hi:[0,0,1]
	ds_read2_b64 v[104:107], v136 offset1:52
	v_pk_add_f32 v[90:91], v[120:121], v[114:115] neg_lo:[0,1] neg_hi:[0,1]
	v_mov_b32_e32 v116, v131
	v_mov_b32_e32 v117, v114
	;; [unrolled: 1-line block ×10, first 2 shown]
	s_mov_b32 s12, 0x3f08b237
	v_pk_add_f32 v[114:115], v[116:117], v[114:115]
	v_pk_add_f32 v[116:117], v[2:3], v[94:95]
	s_mov_b32 s18, 0x3d64c772
	v_pk_add_f32 v[96:97], v[96:97], v[110:111] neg_lo:[0,1] neg_hi:[0,1]
	s_mov_b32 s13, 0xbeae86e6
	v_mov_b32_e32 v110, v98
	v_mov_b32_e32 v112, v90
	;; [unrolled: 1-line block ×9, first 2 shown]
	s_mov_b32 s19, 0x3f4a47b2
	v_pk_add_f32 v[110:111], v[110:111], v[112:113] neg_lo:[0,1] neg_hi:[0,1]
	s_mov_b32 s2, s13
	s_mov_b32 s3, s12
	v_pk_add_f32 v[118:119], v[94:95], v[118:119] neg_lo:[0,1] neg_hi:[0,1]
	v_pk_add_f32 v[120:121], v[120:121], v[2:3] neg_lo:[0,1] neg_hi:[0,1]
	s_mov_b32 s20, s19
	s_mov_b32 s21, s18
	v_pk_mul_f32 v[96:97], v[96:97], s[12:13]
	v_pk_mul_f32 v[112:113], v[110:111], s[2:3]
	v_pk_add_f32 v[90:91], v[90:91], v[132:133]
	v_pk_add_f32 v[114:115], v[114:115], v[116:117]
	v_pk_mul_f32 v[116:117], v[118:119], s[18:19]
	v_pk_mul_f32 v[118:119], v[120:121], s[20:21]
	v_mov_b32_e32 v2, v131
	v_mov_b32_e32 v94, v55
	v_pk_add_f32 v[90:91], v[90:91], v[98:99]
	s_waitcnt lgkmcnt(0)
	v_pk_add_f32 v[104:105], v[104:105], v[114:115]
	s_mov_b32 s16, 0x3f955555
	v_pk_add_f32 v[98:99], v[132:133], v[98:99] neg_lo:[0,1] neg_hi:[0,1]
	s_mov_b32 s6, 0xbf5ff5aa
	v_pk_add_f32 v[2:3], v[2:3], v[94:95] neg_lo:[0,1] neg_hi:[0,1]
	s_mov_b32 s14, 0x3f3bfb3b
	v_mov_b32_e32 v54, v118
	v_mov_b32_e32 v55, v117
	;; [unrolled: 1-line block ×4, first 2 shown]
	s_mov_b32 s0, 0xbee1c552
	v_pk_fma_f32 v[114:115], v[114:115], s[16:17], v[104:105] op_sel_hi:[1,0,1] neg_lo:[1,0,0] neg_hi:[1,0,0]
	v_pk_fma_f32 v[120:121], v[120:121], s[20:21], v[116:117]
	v_pk_fma_f32 v[110:111], v[110:111], s[2:3], v[96:97]
	v_pk_fma_f32 v[54:55], v[2:3], s[14:15], v[54:55] op_sel_hi:[1,0,1] neg_lo:[1,0,1] neg_hi:[1,0,1]
	v_pk_fma_f32 v[94:95], v[98:99], s[6:7], v[94:95] op_sel_hi:[1,0,1] neg_lo:[1,0,1] neg_hi:[1,0,1]
	v_pk_add_f32 v[120:121], v[120:121], v[114:115]
	v_pk_fma_f32 v[110:111], v[90:91], s[0:1], v[110:111] op_sel_hi:[1,0,1]
	v_pk_add_f32 v[54:55], v[54:55], v[114:115]
	v_pk_fma_f32 v[94:95], v[90:91], s[0:1], v[94:95] op_sel_hi:[1,0,1]
	v_mov_b32_e32 v117, v119
	v_mov_b32_e32 v97, v113
	v_pk_add_f32 v[134:135], v[120:121], v[110:111]
	v_pk_add_f32 v[110:111], v[120:121], v[110:111] neg_lo:[0,1] neg_hi:[0,1]
	v_pk_add_f32 v[120:121], v[54:55], v[94:95]
	v_pk_add_f32 v[54:55], v[54:55], v[94:95] neg_lo:[0,1] neg_hi:[0,1]
	v_pk_fma_f32 v[2:3], v[2:3], s[14:15], v[116:117] op_sel_hi:[1,0,1] neg_lo:[0,0,1] neg_hi:[0,0,1]
	v_pk_fma_f32 v[94:95], v[98:99], s[6:7], v[96:97] op_sel_hi:[1,0,1] neg_lo:[0,0,1] neg_hi:[0,0,1]
	v_mul_f32_e32 v125, v51, v93
	v_pk_add_f32 v[2:3], v[2:3], v[114:115]
	v_pk_fma_f32 v[90:91], v[90:91], s[0:1], v[94:95] op_sel_hi:[1,0,1]
	v_fmac_f32_e32 v125, v50, v92
	v_pk_add_f32 v[94:95], v[2:3], v[90:91] neg_lo:[0,1] neg_hi:[0,1]
	v_pk_add_f32 v[2:3], v[2:3], v[90:91]
	v_mov_b32_e32 v91, v50
	v_mov_b32_e32 v50, v41
	;; [unrolled: 1-line block ×7, first 2 shown]
	v_pk_mul_f32 v[50:51], v[50:51], v[98:99]
	v_mul_f32_e32 v127, v45, v9
	v_pk_fma_f32 v[92:93], v[40:41], v[102:103], v[50:51]
	v_pk_fma_f32 v[50:51], v[90:91], v[96:97], v[50:51] neg_lo:[0,0,1] neg_hi:[0,0,1]
	v_mov_b32_e32 v90, v4
	v_mov_b32_e32 v40, v49
	;; [unrolled: 1-line block ×4, first 2 shown]
	v_fmac_f32_e32 v127, v44, v8
	v_mov_b32_e32 v91, v103
	v_pk_mul_f32 v[4:5], v[40:41], v[4:5]
	v_mov_b32_e32 v49, v44
	v_mov_b32_e32 v44, v43
	;; [unrolled: 1-line block ×4, first 2 shown]
	v_pk_fma_f32 v[40:41], v[186:187], v[90:91], v[4:5]
	v_pk_fma_f32 v[4:5], v[186:187], v[90:91], v[4:5] neg_lo:[0,0,1] neg_hi:[0,0,1]
	v_mov_b32_e32 v48, v42
	v_mov_b32_e32 v90, v108
	;; [unrolled: 1-line block ×3, first 2 shown]
	v_pk_mul_f32 v[8:9], v[44:45], v[96:97]
	v_mov_b32_e32 v46, v101
	v_pk_fma_f32 v[44:45], v[42:43], v[108:109], v[8:9]
	v_pk_fma_f32 v[8:9], v[48:49], v[90:91], v[8:9] neg_lo:[0,0,1] neg_hi:[0,0,1]
	v_mov_b32_e32 v42, v47
	v_mov_b32_e32 v47, v108
	v_accvgpr_read_b32 v91, a81
	v_mov_b32_e32 v48, v100
	v_mov_b32_e32 v49, v109
	v_pk_mul_f32 v[42:43], v[42:43], v[46:47]
	v_accvgpr_read_b32 v90, a80
	v_pk_fma_f32 v[46:47], v[90:91], v[48:49], v[42:43]
	v_pk_fma_f32 v[42:43], v[90:91], v[48:49], v[42:43] neg_lo:[0,0,1] neg_hi:[0,0,1]
	v_mov_b32_e32 v93, v51
	v_mov_b32_e32 v41, v5
	;; [unrolled: 1-line block ×4, first 2 shown]
	v_add_f32_e32 v52, v125, v127
	v_mov_b32_e32 v123, v40
	v_mov_b32_e32 v129, v46
	v_mov_b32_e32 v124, v51
	v_mov_b32_e32 v126, v9
	v_pk_add_f32 v[50:51], v[92:93], v[44:45]
	v_pk_add_f32 v[40:41], v[40:41], v[46:47]
	v_mov_b32_e32 v42, v43
	v_mov_b32_e32 v43, v44
	;; [unrolled: 1-line block ×4, first 2 shown]
	v_pk_add_f32 v[48:49], v[122:123], v[128:129] neg_lo:[0,1] neg_hi:[0,1]
	v_pk_add_f32 v[8:9], v[124:125], v[126:127] neg_lo:[0,1] neg_hi:[0,1]
	v_pk_add_f32 v[4:5], v[42:43], v[4:5] neg_lo:[0,1] neg_hi:[0,1]
	v_mov_b32_e32 v53, v51
	v_mov_b32_e32 v30, v40
	;; [unrolled: 1-line block ×6, first 2 shown]
	v_pk_add_f32 v[42:43], v[52:53], v[30:31]
	v_pk_add_f32 v[44:45], v[44:45], v[46:47] neg_lo:[0,1] neg_hi:[0,1]
	v_pk_add_f32 v[46:47], v[40:41], v[50:51] neg_lo:[0,1] neg_hi:[0,1]
	v_mov_b32_e32 v92, v4
	v_mov_b32_e32 v93, v49
	;; [unrolled: 1-line block ×5, first 2 shown]
	v_pk_add_f32 v[90:91], v[4:5], v[8:9]
	v_pk_add_f32 v[92:93], v[92:93], v[96:97] neg_lo:[0,1] neg_hi:[0,1]
	v_mov_b32_e32 v96, v48
	v_mov_b32_e32 v5, v9
	v_pk_add_f32 v[40:41], v[50:51], v[42:43]
	v_pk_add_f32 v[4:5], v[96:97], v[4:5] neg_lo:[0,1] neg_hi:[0,1]
	v_pk_add_f32 v[50:51], v[106:107], v[40:41]
	v_pk_mul_f32 v[44:45], v[44:45], s[18:19]
	v_pk_mul_f32 v[92:93], v[92:93], s[12:13]
	v_pk_add_f32 v[42:43], v[90:91], v[48:49]
	v_pk_mul_f32 v[90:91], v[46:47], s[20:21]
	v_pk_mul_f32 v[96:97], v[4:5], s[2:3]
	v_pk_fma_f32 v[40:41], v[40:41], s[16:17], v[50:51] op_sel_hi:[1,0,1] neg_lo:[1,0,0] neg_hi:[1,0,0]
	v_pk_fma_f32 v[46:47], v[46:47], s[20:21], v[44:45]
	v_pk_fma_f32 v[4:5], v[4:5], s[2:3], v[92:93]
	v_pk_add_f32 v[46:47], v[46:47], v[40:41]
	v_pk_fma_f32 v[4:5], v[42:43], s[0:1], v[4:5] op_sel_hi:[1,0,1]
	s_nop 0
	v_pk_add_f32 v[98:99], v[46:47], v[4:5] neg_lo:[0,1] neg_hi:[0,1]
	v_pk_add_f32 v[4:5], v[46:47], v[4:5]
	v_mov_b32_e32 v46, v134
	v_mov_b32_e32 v47, v111
	; wave barrier
	ds_write2_b64 v136, v[104:105], v[46:47] offset1:52
	v_mov_b32_e32 v46, v120
	v_mov_b32_e32 v47, v55
	v_mov_b32_e32 v100, v94
	v_mov_b32_e32 v101, v3
	ds_write2_b64 v136, v[46:47], v[100:101] offset0:104 offset1:156
	v_pk_add_f32 v[30:31], v[52:53], v[30:31] neg_lo:[0,1] neg_hi:[0,1]
	v_pk_add_f32 v[8:9], v[8:9], v[48:49] neg_lo:[0,1] neg_hi:[0,1]
	v_mov_b32_e32 v46, v90
	v_mov_b32_e32 v47, v45
	;; [unrolled: 1-line block ×4, first 2 shown]
	v_pk_fma_f32 v[46:47], v[30:31], s[14:15], v[46:47] op_sel_hi:[1,0,1] neg_lo:[1,0,1] neg_hi:[1,0,1]
	v_pk_fma_f32 v[48:49], v[8:9], s[6:7], v[48:49] op_sel_hi:[1,0,1] neg_lo:[1,0,1] neg_hi:[1,0,1]
	v_mov_b32_e32 v3, v95
	v_mov_b32_e32 v55, v121
	;; [unrolled: 1-line block ×3, first 2 shown]
	v_pk_add_f32 v[46:47], v[46:47], v[40:41]
	v_pk_fma_f32 v[48:49], v[42:43], s[0:1], v[48:49] op_sel_hi:[1,0,1]
	ds_write2_b64 v87, v[2:3], v[54:55] offset0:80 offset1:132
	ds_write2_b64 v85, v[110:111], v[50:51] offset0:56 offset1:108
	v_pk_add_f32 v[50:51], v[46:47], v[48:49] neg_lo:[0,1] neg_hi:[0,1]
	v_pk_add_f32 v[46:47], v[46:47], v[48:49]
	v_mov_b32_e32 v2, v4
	v_mov_b32_e32 v3, v99
	;; [unrolled: 1-line block ×6, first 2 shown]
	ds_write2_b64 v85, v[2:3], v[48:49] offset0:160 offset1:212
	v_pk_fma_f32 v[2:3], v[30:31], s[14:15], v[44:45] op_sel_hi:[1,0,1] neg_lo:[0,0,1] neg_hi:[0,0,1]
	v_pk_fma_f32 v[8:9], v[8:9], s[6:7], v[92:93] op_sel_hi:[1,0,1] neg_lo:[0,0,1] neg_hi:[0,0,1]
	v_pk_add_f32 v[2:3], v[2:3], v[40:41]
	v_pk_fma_f32 v[8:9], v[42:43], s[0:1], v[8:9] op_sel_hi:[1,0,1]
	v_mov_b32_e32 v99, v5
	v_pk_add_f32 v[30:31], v[2:3], v[8:9]
	v_pk_add_f32 v[2:3], v[2:3], v[8:9] neg_lo:[0,1] neg_hi:[0,1]
	v_pk_mul_f32 v[4:5], v[36:37], v[6:7] op_sel_hi:[1,0]
	v_mov_b32_e32 v8, v2
	v_mov_b32_e32 v2, v7
	;; [unrolled: 1-line block ×4, first 2 shown]
	v_pk_fma_f32 v[2:3], v[36:37], v[2:3], v[4:5] op_sel:[0,0,1] op_sel_hi:[1,1,0] neg_lo:[0,0,1] neg_hi:[0,0,1]
	v_pk_fma_f32 v[4:5], v[36:37], v[6:7], v[4:5] op_sel:[0,1,1] op_sel_hi:[1,1,0]
	v_pk_mul_f32 v[6:7], v[38:39], v[12:13] op_sel_hi:[1,0]
	v_mov_b32_e32 v4, v13
	v_mov_b32_e32 v3, v5
	v_pk_fma_f32 v[4:5], v[38:39], v[4:5], v[6:7] op_sel:[0,0,1] op_sel_hi:[1,1,0] neg_lo:[0,0,1] neg_hi:[0,0,1]
	v_pk_fma_f32 v[6:7], v[38:39], v[12:13], v[6:7] op_sel:[0,1,1] op_sel_hi:[1,1,0]
	ds_write2_b64 v88, v[8:9], v[30:31] offset0:8 offset1:60
	v_mov_b32_e32 v6, v11
	v_pk_mul_f32 v[8:9], v[32:33], v[10:11] op_sel_hi:[1,0]
	v_mov_b32_e32 v5, v7
	v_pk_fma_f32 v[6:7], v[32:33], v[6:7], v[8:9] op_sel:[0,0,1] op_sel_hi:[1,1,0] neg_lo:[0,0,1] neg_hi:[0,0,1]
	v_pk_fma_f32 v[8:9], v[32:33], v[10:11], v[8:9] op_sel:[0,1,1] op_sel_hi:[1,1,0]
	v_pk_mul_f32 v[10:11], v[34:35], v[20:21] op_sel_hi:[1,0]
	v_mov_b32_e32 v8, v21
	v_mov_b32_e32 v7, v9
	v_pk_fma_f32 v[8:9], v[34:35], v[8:9], v[10:11] op_sel:[0,0,1] op_sel_hi:[1,1,0] neg_lo:[0,0,1] neg_hi:[0,0,1]
	v_pk_fma_f32 v[10:11], v[34:35], v[20:21], v[10:11] op_sel:[0,1,1] op_sel_hi:[1,1,0]
	v_mov_b32_e32 v27, v2
	v_mov_b32_e32 v9, v11
	;; [unrolled: 1-line block ×5, first 2 shown]
	v_pk_add_f32 v[10:11], v[2:3], v[8:9]
	v_pk_add_f32 v[12:13], v[2:3], v[8:9] neg_lo:[0,1] neg_hi:[0,1]
	v_pk_add_f32 v[20:21], v[4:5], v[6:7]
	v_pk_add_f32 v[30:31], v[4:5], v[6:7] neg_lo:[0,1] neg_hi:[0,1]
	v_pk_add_f32 v[2:3], v[26:27], v[28:29]
	v_pk_add_f32 v[4:5], v[22:23], v[24:25]
	v_mov_b32_e32 v19, v2
	v_mov_b32_e32 v15, v4
	v_pk_add_f32 v[6:7], v[18:19], v[14:15] neg_lo:[0,1] neg_hi:[0,1]
	v_mov_b32_e32 v26, v21
	v_mov_b32_e32 v27, v14
	;; [unrolled: 1-line block ×4, first 2 shown]
	v_pk_add_f32 v[14:15], v[26:27], v[14:15]
	v_pk_add_f32 v[18:19], v[4:5], v[2:3]
	v_mov_b32_e32 v8, v6
	v_mov_b32_e32 v9, v13
	;; [unrolled: 1-line block ×6, first 2 shown]
	v_pk_add_f32 v[8:9], v[8:9], v[22:23] neg_lo:[0,1] neg_hi:[0,1]
	v_mov_b32_e32 v22, v12
	v_mov_b32_e32 v24, v6
	;; [unrolled: 1-line block ×3, first 2 shown]
	v_pk_add_f32 v[26:27], v[2:3], v[26:27] neg_lo:[0,1] neg_hi:[0,1]
	v_mov_b32_e32 v28, v11
	v_mov_b32_e32 v29, v15
	;; [unrolled: 1-line block ×3, first 2 shown]
	v_pk_add_f32 v[14:15], v[14:15], v[18:19]
	v_pk_mul_f32 v[8:9], v[8:9], s[12:13]
	v_pk_add_f32 v[22:23], v[22:23], v[24:25] neg_lo:[0,1] neg_hi:[0,1]
	v_pk_add_f32 v[6:7], v[6:7], v[30:31]
	v_pk_add_f32 v[28:29], v[28:29], v[4:5] neg_lo:[0,1] neg_hi:[0,1]
	v_pk_add_f32 v[0:1], v[0:1], v[14:15]
	v_pk_mul_f32 v[18:19], v[26:27], s[18:19]
	v_pk_mul_f32 v[24:25], v[22:23], s[2:3]
	v_pk_add_f32 v[6:7], v[6:7], v[12:13]
	v_pk_mul_f32 v[26:27], v[28:29], s[20:21]
	v_pk_fma_f32 v[14:15], v[14:15], s[16:17], v[0:1] op_sel_hi:[1,0,1] neg_lo:[1,0,0] neg_hi:[1,0,0]
	v_pk_fma_f32 v[28:29], v[28:29], s[20:21], v[18:19]
	v_pk_fma_f32 v[22:23], v[22:23], s[2:3], v[8:9]
	v_pk_add_f32 v[28:29], v[28:29], v[14:15]
	v_pk_fma_f32 v[22:23], v[6:7], s[0:1], v[22:23] op_sel_hi:[1,0,1]
	v_accvgpr_read_b32 v20, a79
	v_pk_add_f32 v[32:33], v[28:29], v[22:23]
	v_pk_add_f32 v[22:23], v[28:29], v[22:23] neg_lo:[0,1] neg_hi:[0,1]
	v_mov_b32_e32 v51, v47
	v_mov_b32_e32 v28, v32
	;; [unrolled: 1-line block ×3, first 2 shown]
	v_add_u32_e32 v2, 0x1400, v20
	ds_write2_b64 v88, v[50:51], v[98:99] offset0:112 offset1:164
	ds_write2_b64 v2, v[0:1], v[28:29] offset0:88 offset1:140
	v_mov_b32_e32 v4, v21
	v_mov_b32_e32 v2, v11
	v_pk_add_f32 v[0:1], v[30:31], v[12:13] neg_lo:[0,1] neg_hi:[0,1]
	v_pk_add_f32 v[2:3], v[4:5], v[2:3] neg_lo:[0,1] neg_hi:[0,1]
	v_mov_b32_e32 v4, v26
	v_mov_b32_e32 v5, v19
	;; [unrolled: 1-line block ×6, first 2 shown]
	v_pk_fma_f32 v[4:5], v[2:3], s[14:15], v[4:5] op_sel_hi:[1,0,1] neg_lo:[1,0,1] neg_hi:[1,0,1]
	v_pk_fma_f32 v[10:11], v[0:1], s[6:7], v[10:11] op_sel_hi:[1,0,1] neg_lo:[1,0,1] neg_hi:[1,0,1]
	v_pk_fma_f32 v[2:3], v[2:3], s[14:15], v[18:19] op_sel_hi:[1,0,1] neg_lo:[0,0,1] neg_hi:[0,0,1]
	v_pk_fma_f32 v[0:1], v[0:1], s[6:7], v[8:9] op_sel_hi:[1,0,1] neg_lo:[0,0,1] neg_hi:[0,0,1]
	v_pk_add_f32 v[4:5], v[4:5], v[14:15]
	v_pk_fma_f32 v[10:11], v[6:7], s[0:1], v[10:11] op_sel_hi:[1,0,1]
	v_pk_add_f32 v[2:3], v[2:3], v[14:15]
	v_pk_fma_f32 v[0:1], v[6:7], s[0:1], v[0:1] op_sel_hi:[1,0,1]
	v_pk_add_f32 v[12:13], v[4:5], v[10:11]
	v_pk_add_f32 v[4:5], v[4:5], v[10:11] neg_lo:[0,1] neg_hi:[0,1]
	v_pk_add_f32 v[6:7], v[2:3], v[0:1] neg_lo:[0,1] neg_hi:[0,1]
	v_pk_add_f32 v[0:1], v[2:3], v[0:1]
	v_mov_b32_e32 v10, v12
	v_mov_b32_e32 v11, v5
	;; [unrolled: 1-line block ×4, first 2 shown]
	v_add_u32_e32 v6, 0x1800, v20
	v_mov_b32_e32 v1, v7
	v_mov_b32_e32 v5, v13
	;; [unrolled: 1-line block ×3, first 2 shown]
	ds_write2_b64 v6, v[10:11], v[2:3] offset0:64 offset1:116
	ds_write2_b64 v6, v[0:1], v[4:5] offset0:168 offset1:220
	ds_write_b64 v20, v[22:23] offset:8320
	s_waitcnt lgkmcnt(0)
	; wave barrier
	s_waitcnt lgkmcnt(0)
	ds_read2_b64 v[0:3], v85 offset0:56 offset1:108
	ds_read2_b64 v[4:7], v136 offset1:52
	ds_read2_b64 v[8:11], v86 offset0:88 offset1:140
	v_accvgpr_read_b32 v24, a66
	v_accvgpr_read_b32 v25, a67
	v_accvgpr_read_b32 v54, a60
	s_waitcnt lgkmcnt(2)
	v_pk_mul_f32 v[12:13], v[80:81], v[2:3]
	v_accvgpr_read_b32 v52, a34
	v_pk_fma_f32 v[28:29], v[204:205], v[2:3], v[12:13] op_sel:[0,0,1] op_sel_hi:[1,1,0]
	v_pk_fma_f32 v[2:3], v[204:205], v[2:3], v[12:13] op_sel:[0,0,1] op_sel_hi:[1,1,0] neg_lo:[0,0,1] neg_hi:[0,0,1]
	ds_read2_b64 v[12:15], v85 offset0:160 offset1:212
	v_mov_b32_e32 v29, v3
	s_waitcnt lgkmcnt(1)
	v_pk_mul_f32 v[2:3], v[82:83], v[8:9]
	v_accvgpr_read_b32 v55, a61
	v_pk_fma_f32 v[30:31], v[202:203], v[8:9], v[2:3] op_sel:[0,0,1] op_sel_hi:[1,1,0]
	v_pk_fma_f32 v[2:3], v[202:203], v[8:9], v[2:3] op_sel:[0,0,1] op_sel_hi:[1,1,0] neg_lo:[0,0,1] neg_hi:[0,0,1]
	s_waitcnt lgkmcnt(0)
	v_pk_mul_f32 v[8:9], v[76:77], v[12:13]
	v_mov_b32_e32 v31, v3
	v_pk_fma_f32 v[32:33], v[200:201], v[12:13], v[8:9] op_sel:[0,0,1] op_sel_hi:[1,1,0]
	v_pk_fma_f32 v[8:9], v[200:201], v[12:13], v[8:9] op_sel:[0,0,1] op_sel_hi:[1,1,0] neg_lo:[0,0,1] neg_hi:[0,0,1]
	v_accvgpr_read_b32 v12, a74
	v_mov_b32_e32 v33, v9
	v_pk_mul_f32 v[8:9], v[78:79], v[10:11]
	v_accvgpr_read_b32 v13, a75
	v_pk_fma_f32 v[34:35], v[12:13], v[10:11], v[8:9] op_sel:[0,0,1] op_sel_hi:[1,1,0]
	v_pk_fma_f32 v[8:9], v[12:13], v[10:11], v[8:9] op_sel:[0,0,1] op_sel_hi:[1,1,0] neg_lo:[0,0,1] neg_hi:[0,0,1]
	v_pk_mul_f32 v[12:13], v[72:73], v[14:15]
	v_mov_b32_e32 v35, v9
	v_pk_add_f32 v[8:9], v[6:7], v[32:33]
	v_pk_fma_f32 v[38:39], v[196:197], v[14:15], v[12:13] op_sel:[0,0,1] op_sel_hi:[1,1,0]
	v_pk_add_f32 v[36:37], v[8:9], v[34:35]
	ds_read2_b64 v[8:11], v136 offset0:104 offset1:156
	ds_read2_b64 v[18:21], v84 offset0:64 offset1:116
	v_pk_fma_f32 v[12:13], v[196:197], v[14:15], v[12:13] op_sel:[0,0,1] op_sel_hi:[1,1,0] neg_lo:[0,0,1] neg_hi:[0,0,1]
	v_pk_add_f32 v[2:3], v[4:5], v[28:29]
	v_mov_b32_e32 v39, v13
	ds_read2_b64 v[12:15], v88 offset0:8 offset1:60
	s_waitcnt lgkmcnt(1)
	v_pk_mul_f32 v[22:23], v[74:75], v[18:19]
	v_pk_add_f32 v[2:3], v[2:3], v[30:31]
	v_pk_fma_f32 v[40:41], v[24:25], v[18:19], v[22:23] op_sel:[0,0,1] op_sel_hi:[1,1,0]
	v_pk_fma_f32 v[18:19], v[24:25], v[18:19], v[22:23] op_sel:[0,0,1] op_sel_hi:[1,1,0] neg_lo:[0,0,1] neg_hi:[0,0,1]
	v_accvgpr_read_b32 v22, a64
	v_mov_b32_e32 v41, v19
	v_pk_add_f32 v[18:19], v[8:9], v[38:39]
	v_accvgpr_read_b32 v23, a65
	v_pk_add_f32 v[42:43], v[18:19], v[40:41]
	s_waitcnt lgkmcnt(0)
	v_pk_mul_f32 v[18:19], v[68:69], v[12:13]
	v_pk_mul_f32 v[48:49], v[64:65], v[14:15]
	v_pk_fma_f32 v[44:45], v[22:23], v[12:13], v[18:19] op_sel:[0,0,1] op_sel_hi:[1,1,0]
	v_pk_fma_f32 v[12:13], v[22:23], v[12:13], v[18:19] op_sel:[0,0,1] op_sel_hi:[1,1,0] neg_lo:[0,0,1] neg_hi:[0,0,1]
	v_accvgpr_read_b32 v18, a62
	v_mov_b32_e32 v45, v13
	v_pk_mul_f32 v[12:13], v[70:71], v[20:21]
	v_accvgpr_read_b32 v19, a63
	v_pk_fma_f32 v[46:47], v[18:19], v[20:21], v[12:13] op_sel:[0,0,1] op_sel_hi:[1,1,0]
	v_pk_fma_f32 v[12:13], v[18:19], v[20:21], v[12:13] op_sel:[0,0,1] op_sel_hi:[1,1,0] neg_lo:[0,0,1] neg_hi:[0,0,1]
	ds_read2_b64 v[18:21], v87 offset0:80 offset1:132
	ds_read2_b64 v[22:25], v84 offset0:168 offset1:220
	v_mov_b32_e32 v47, v13
	v_pk_add_f32 v[12:13], v[10:11], v[44:45]
	v_mad_u64_u32 v[26:27], s[0:1], s10, v52, 0
	v_pk_add_f32 v[12:13], v[12:13], v[46:47]
	v_pk_fma_f32 v[50:51], v[54:55], v[14:15], v[48:49] op_sel:[0,0,1] op_sel_hi:[1,1,0]
	v_pk_fma_f32 v[14:15], v[54:55], v[14:15], v[48:49] op_sel:[0,0,1] op_sel_hi:[1,1,0] neg_lo:[0,0,1] neg_hi:[0,0,1]
	v_accvgpr_read_b32 v54, a58
	ds_write2_b64 v136, v[2:3], v[36:37] offset1:52
	ds_write2_b64 v136, v[42:43], v[12:13] offset0:104 offset1:156
	v_pk_add_f32 v[2:3], v[44:45], v[46:47]
	v_mov_b32_e32 v51, v15
	s_waitcnt lgkmcnt(2)
	v_pk_mul_f32 v[14:15], v[66:67], v[22:23]
	v_accvgpr_read_b32 v55, a59
	v_pk_fma_f32 v[2:3], v[2:3], 0.5, v[10:11] op_sel_hi:[1,0,1] neg_lo:[1,0,0] neg_hi:[1,0,0]
	v_pk_add_f32 v[10:11], v[44:45], v[46:47] neg_lo:[0,1] neg_hi:[0,1]
	s_mov_b32 s0, 0x3f5db3d7
	v_pk_fma_f32 v[48:49], v[54:55], v[22:23], v[14:15] op_sel:[0,0,1] op_sel_hi:[1,1,0]
	v_pk_fma_f32 v[14:15], v[54:55], v[22:23], v[14:15] op_sel:[0,0,1] op_sel_hi:[1,1,0] neg_lo:[0,0,1] neg_hi:[0,0,1]
	v_pk_mul_f32 v[22:23], v[10:11], s[0:1] op_sel_hi:[1,0]
	ds_read2_b64 v[10:13], v88 offset0:112 offset1:164
	v_pk_add_f32 v[36:37], v[2:3], v[22:23] op_sel:[0,1] op_sel_hi:[1,0] neg_lo:[0,1] neg_hi:[0,1]
	v_pk_add_f32 v[2:3], v[2:3], v[22:23] op_sel:[0,1] op_sel_hi:[1,0]
	v_accvgpr_read_b32 v44, a56
	v_mov_b32_e32 v22, v36
	v_mov_b32_e32 v23, v3
	;; [unrolled: 1-line block ×3, first 2 shown]
	s_waitcnt lgkmcnt(0)
	v_pk_mul_f32 v[36:37], v[60:61], v[10:11]
	v_accvgpr_read_b32 v45, a57
	v_pk_fma_f32 v[42:43], v[44:45], v[10:11], v[36:37] op_sel:[0,0,1] op_sel_hi:[1,1,0]
	v_pk_fma_f32 v[10:11], v[44:45], v[10:11], v[36:37] op_sel:[0,0,1] op_sel_hi:[1,1,0] neg_lo:[0,0,1] neg_hi:[0,0,1]
	v_accvgpr_read_b32 v44, a54
	v_mov_b32_e32 v43, v11
	v_pk_mul_f32 v[10:11], v[62:63], v[24:25]
	v_accvgpr_read_b32 v45, a55
	v_pk_fma_f32 v[36:37], v[44:45], v[24:25], v[10:11] op_sel:[0,0,1] op_sel_hi:[1,1,0]
	v_pk_fma_f32 v[10:11], v[44:45], v[24:25], v[10:11] op_sel:[0,0,1] op_sel_hi:[1,1,0] neg_lo:[0,0,1] neg_hi:[0,0,1]
	ds_read_b64 v[24:25], v136 offset:8320
	v_accvgpr_read_b32 v55, a53
	v_pk_mul_f32 v[44:45], v[56:57], v[12:13]
	v_accvgpr_read_b32 v54, a52
	v_pk_fma_f32 v[46:47], v[54:55], v[12:13], v[44:45] op_sel:[0,0,1] op_sel_hi:[1,1,0]
	v_pk_fma_f32 v[12:13], v[54:55], v[12:13], v[44:45] op_sel:[0,0,1] op_sel_hi:[1,1,0] neg_lo:[0,0,1] neg_hi:[0,0,1]
	v_accvgpr_read_b32 v55, a51
	v_mov_b32_e32 v47, v13
	s_waitcnt lgkmcnt(0)
	v_pk_mul_f32 v[12:13], v[58:59], v[24:25]
	v_accvgpr_read_b32 v54, a50
	v_pk_fma_f32 v[44:45], v[54:55], v[24:25], v[12:13] op_sel:[0,0,1] op_sel_hi:[1,1,0]
	v_pk_fma_f32 v[12:13], v[54:55], v[24:25], v[12:13] op_sel:[0,0,1] op_sel_hi:[1,1,0] neg_lo:[0,0,1] neg_hi:[0,0,1]
	v_pk_add_f32 v[24:25], v[28:29], v[30:31]
	v_mov_b32_e32 v49, v15
	v_pk_fma_f32 v[4:5], v[24:25], 0.5, v[4:5] op_sel_hi:[1,0,1] neg_lo:[1,0,0] neg_hi:[1,0,0]
	v_pk_add_f32 v[24:25], v[28:29], v[30:31] neg_lo:[0,1] neg_hi:[0,1]
	v_mov_b32_e32 v37, v11
	v_pk_mul_f32 v[24:25], v[24:25], s[0:1] op_sel_hi:[1,0]
	v_pk_add_f32 v[14:15], v[18:19], v[50:51]
	v_pk_add_f32 v[28:29], v[4:5], v[24:25] op_sel:[0,1] op_sel_hi:[1,0] neg_lo:[0,1] neg_hi:[0,1]
	v_pk_add_f32 v[4:5], v[4:5], v[24:25] op_sel:[0,1] op_sel_hi:[1,0]
	v_mov_b32_e32 v25, v29
	v_mov_b32_e32 v24, v4
	;; [unrolled: 1-line block ×3, first 2 shown]
	v_pk_add_f32 v[4:5], v[32:33], v[34:35]
	v_pk_add_f32 v[10:11], v[20:21], v[42:43]
	v_pk_fma_f32 v[4:5], v[4:5], 0.5, v[6:7] op_sel_hi:[1,0,1] neg_lo:[1,0,0] neg_hi:[1,0,0]
	v_pk_add_f32 v[6:7], v[32:33], v[34:35] neg_lo:[0,1] neg_hi:[0,1]
	v_pk_add_f32 v[14:15], v[14:15], v[48:49]
	v_pk_mul_f32 v[6:7], v[6:7], s[0:1] op_sel_hi:[1,0]
	v_pk_add_f32 v[10:11], v[10:11], v[36:37]
	v_pk_add_f32 v[30:31], v[4:5], v[6:7] op_sel:[0,1] op_sel_hi:[1,0] neg_lo:[0,1] neg_hi:[0,1]
	v_pk_add_f32 v[4:5], v[4:5], v[6:7] op_sel:[0,1] op_sel_hi:[1,0]
	v_mov_b32_e32 v7, v31
	v_mov_b32_e32 v6, v4
	ds_write2_b64 v86, v[24:25], v[6:7] offset0:88 offset1:140
	v_mov_b32_e32 v31, v5
	v_pk_add_f32 v[4:5], v[38:39], v[40:41]
	v_pk_add_f32 v[6:7], v[38:39], v[40:41] neg_lo:[0,1] neg_hi:[0,1]
	v_pk_fma_f32 v[4:5], v[4:5], 0.5, v[8:9] op_sel_hi:[1,0,1] neg_lo:[1,0,0] neg_hi:[1,0,0]
	v_pk_mul_f32 v[6:7], v[6:7], s[0:1] op_sel_hi:[1,0]
	v_mov_b32_e32 v45, v13
	v_pk_add_f32 v[8:9], v[4:5], v[6:7] op_sel:[0,1] op_sel_hi:[1,0] neg_lo:[0,1] neg_hi:[0,1]
	v_pk_add_f32 v[4:5], v[4:5], v[6:7] op_sel:[0,1] op_sel_hi:[1,0]
	v_mov_b32_e32 v7, v9
	v_mov_b32_e32 v6, v4
	ds_write2_b64 v84, v[6:7], v[2:3] offset0:64 offset1:116
	v_mov_b32_e32 v9, v5
	v_pk_add_f32 v[2:3], v[50:51], v[48:49]
	v_pk_add_f32 v[4:5], v[50:51], v[48:49] neg_lo:[0,1] neg_hi:[0,1]
	v_pk_fma_f32 v[2:3], v[2:3], 0.5, v[18:19] op_sel_hi:[1,0,1] neg_lo:[1,0,0] neg_hi:[1,0,0]
	v_pk_mul_f32 v[4:5], v[4:5], s[0:1] op_sel_hi:[1,0]
	ds_write2_b64 v85, v[30:31], v[8:9] offset0:160 offset1:212
	v_pk_add_f32 v[6:7], v[2:3], v[4:5] op_sel:[0,1] op_sel_hi:[1,0] neg_lo:[0,1] neg_hi:[0,1]
	v_pk_add_f32 v[2:3], v[2:3], v[4:5] op_sel:[0,1] op_sel_hi:[1,0]
	v_mov_b32_e32 v4, v6
	v_mov_b32_e32 v5, v3
	ds_write2_b64 v88, v[22:23], v[4:5] offset0:8 offset1:60
	v_mov_b32_e32 v3, v7
	v_pk_add_f32 v[4:5], v[42:43], v[36:37]
	v_pk_add_f32 v[6:7], v[42:43], v[36:37] neg_lo:[0,1] neg_hi:[0,1]
	v_pk_fma_f32 v[4:5], v[4:5], 0.5, v[20:21] op_sel_hi:[1,0,1] neg_lo:[1,0,0] neg_hi:[1,0,0]
	v_pk_mul_f32 v[6:7], v[6:7], s[0:1] op_sel_hi:[1,0]
	v_pk_add_f32 v[12:13], v[0:1], v[46:47]
	v_pk_add_f32 v[8:9], v[4:5], v[6:7] op_sel:[0,1] op_sel_hi:[1,0] neg_lo:[0,1] neg_hi:[0,1]
	v_pk_add_f32 v[4:5], v[4:5], v[6:7] op_sel:[0,1] op_sel_hi:[1,0]
	v_pk_add_f32 v[12:13], v[12:13], v[44:45]
	v_mov_b32_e32 v7, v5
	v_mov_b32_e32 v5, v9
	ds_write2_b64 v87, v[14:15], v[10:11] offset0:80 offset1:132
	ds_write2_b64 v84, v[2:3], v[4:5] offset0:168 offset1:220
	;; [unrolled: 1-line block ×3, first 2 shown]
	v_pk_add_f32 v[2:3], v[46:47], v[44:45]
	v_mov_b32_e32 v6, v8
	v_pk_fma_f32 v[0:1], v[2:3], 0.5, v[0:1] op_sel_hi:[1,0,1] neg_lo:[1,0,0] neg_hi:[1,0,0]
	v_pk_add_f32 v[2:3], v[46:47], v[44:45] neg_lo:[0,1] neg_hi:[0,1]
	s_mul_hi_u32 s7, s8, 0xfffffe12
	v_pk_mul_f32 v[2:3], v[2:3], s[0:1] op_sel_hi:[1,0]
	s_mul_i32 s6, s9, 0xfffffe12
	v_pk_add_f32 v[4:5], v[0:1], v[2:3] op_sel:[0,1] op_sel_hi:[1,0] neg_lo:[0,1] neg_hi:[0,1]
	v_pk_add_f32 v[0:1], v[0:1], v[2:3] op_sel:[0,1] op_sel_hi:[1,0]
	v_mov_b32_e32 v2, v4
	v_mov_b32_e32 v3, v1
	;; [unrolled: 1-line block ×3, first 2 shown]
	ds_write2_b64 v88, v[6:7], v[2:3] offset0:112 offset1:164
	ds_write_b64 v136, v[0:1] offset:8320
	s_waitcnt lgkmcnt(0)
	; wave barrier
	s_waitcnt lgkmcnt(0)
	ds_read2_b64 v[0:3], v136 offset1:52
	v_mov_b32_e32 v4, v27
	v_accvgpr_read_b32 v6, a44
	v_mad_u64_u32 v[4:5], s[0:1], s11, v52, v[4:5]
	v_accvgpr_read_b32 v7, a45
	v_mov_b32_e32 v27, v4
	s_waitcnt lgkmcnt(0)
	v_mul_f32_e32 v4, v7, v1
	v_fmac_f32_e32 v4, v6, v0
	v_mul_f32_e32 v0, v7, v0
	s_mov_b32 s0, 0x1e01e01e
	v_fma_f32 v0, v6, v1, -v0
	s_mov_b32 s1, 0x3f4e01e0
	v_cvt_f64_f32_e32 v[0:1], v0
	v_cvt_f64_f32_e32 v[4:5], v4
	v_mul_f64 v[0:1], v[0:1], s[0:1]
	v_accvgpr_read_b32 v6, a26
	v_mul_f64 v[4:5], v[4:5], s[0:1]
	v_cvt_f32_f64_e32 v9, v[0:1]
	v_mad_u64_u32 v[0:1], s[2:3], s8, v6, 0
	v_cvt_f32_f64_e32 v8, v[4:5]
	v_mov_b32_e32 v4, v1
	v_mad_u64_u32 v[10:11], s[2:3], s9, v6, v[4:5]
	ds_read2_b64 v[4:7], v88 offset0:34 offset1:86
	v_mov_b32_e32 v1, v10
	v_lshl_add_u64 v[10:11], v[26:27], 3, v[16:17]
	v_lshl_add_u64 v[0:1], v[0:1], 3, v[10:11]
	v_accvgpr_read_b32 v10, a42
	v_accvgpr_read_b32 v11, a43
	global_store_dwordx2 v[0:1], v[8:9], off
	s_waitcnt lgkmcnt(0)
	v_mul_f32_e32 v8, v11, v5
	v_fmac_f32_e32 v8, v10, v4
	v_mul_f32_e32 v4, v11, v4
	v_fma_f32 v4, v10, v5, -v4
	s_mul_i32 s2, s9, 0x222
	s_mul_hi_u32 s3, s8, 0x222
	v_cvt_f64_f32_e32 v[8:9], v8
	v_cvt_f64_f32_e32 v[4:5], v4
	s_add_i32 s3, s3, s2
	s_mul_i32 s2, s8, 0x222
	v_mul_f64 v[8:9], v[8:9], s[0:1]
	v_mul_f64 v[4:5], v[4:5], s[0:1]
	s_lshl_b64 s[10:11], s[2:3], 3
	v_cvt_f32_f64_e32 v8, v[8:9]
	v_cvt_f32_f64_e32 v9, v[4:5]
	v_lshl_add_u64 v[0:1], v[0:1], 0, s[10:11]
	global_store_dwordx2 v[0:1], v[8:9], off
	v_accvgpr_read_b32 v8, a40
	v_accvgpr_read_b32 v9, a41
	v_mul_f32_e32 v4, v9, v3
	v_fmac_f32_e32 v4, v8, v2
	v_mul_f32_e32 v2, v9, v2
	v_fma_f32 v2, v8, v3, -v2
	v_cvt_f64_f32_e32 v[4:5], v4
	v_cvt_f64_f32_e32 v[2:3], v2
	v_mul_f64 v[4:5], v[4:5], s[0:1]
	v_mul_f64 v[2:3], v[2:3], s[0:1]
	s_sub_i32 s7, s7, s8
	v_cvt_f32_f64_e32 v4, v[4:5]
	v_cvt_f32_f64_e32 v5, v[2:3]
	s_add_i32 s7, s7, s6
	s_mul_i32 s6, s8, 0xfffffe12
	v_accvgpr_read_b32 v2, a38
	s_lshl_b64 s[8:9], s[6:7], 3
	v_accvgpr_read_b32 v3, a39
	v_lshl_add_u64 v[8:9], v[0:1], 0, s[8:9]
	v_mul_f32_e32 v0, v3, v7
	v_fmac_f32_e32 v0, v2, v6
	v_cvt_f64_f32_e32 v[0:1], v0
	v_mul_f64 v[0:1], v[0:1], s[0:1]
	global_store_dwordx2 v[8:9], v[4:5], off
	v_cvt_f32_f64_e32 v4, v[0:1]
	v_mul_f32_e32 v0, v3, v6
	v_fma_f32 v0, v2, v7, -v0
	v_cvt_f64_f32_e32 v[6:7], v0
	ds_read2_b64 v[0:3], v136 offset0:104 offset1:156
	v_mul_f64 v[6:7], v[6:7], s[0:1]
	v_cvt_f32_f64_e32 v5, v[6:7]
	v_accvgpr_read_b32 v6, a36
	v_lshl_add_u64 v[8:9], v[8:9], 0, s[10:11]
	v_accvgpr_read_b32 v7, a37
	global_store_dwordx2 v[8:9], v[4:5], off
	s_waitcnt lgkmcnt(0)
	v_mul_f32_e32 v4, v7, v1
	v_fmac_f32_e32 v4, v6, v0
	v_cvt_f64_f32_e32 v[4:5], v4
	v_mul_f32_e32 v0, v7, v0
	v_mul_f64 v[4:5], v[4:5], s[0:1]
	v_fma_f32 v0, v6, v1, -v0
	v_cvt_f32_f64_e32 v10, v[4:5]
	v_cvt_f64_f32_e32 v[0:1], v0
	ds_read2_b64 v[4:7], v88 offset0:138 offset1:190
	v_mul_f64 v[0:1], v[0:1], s[0:1]
	v_cvt_f32_f64_e32 v11, v[0:1]
	v_lshl_add_u64 v[0:1], v[8:9], 0, s[8:9]
	global_store_dwordx2 v[0:1], v[10:11], off
	v_accvgpr_read_b32 v10, a32
	v_accvgpr_read_b32 v11, a33
	s_waitcnt lgkmcnt(0)
	v_mul_f32_e32 v8, v11, v5
	v_fmac_f32_e32 v8, v10, v4
	v_mul_f32_e32 v4, v11, v4
	v_fma_f32 v4, v10, v5, -v4
	v_cvt_f64_f32_e32 v[8:9], v8
	v_cvt_f64_f32_e32 v[4:5], v4
	v_mul_f64 v[8:9], v[8:9], s[0:1]
	v_mul_f64 v[4:5], v[4:5], s[0:1]
	v_cvt_f32_f64_e32 v8, v[8:9]
	v_cvt_f32_f64_e32 v9, v[4:5]
	v_lshl_add_u64 v[0:1], v[0:1], 0, s[10:11]
	global_store_dwordx2 v[0:1], v[8:9], off
	v_accvgpr_read_b32 v8, a30
	v_accvgpr_read_b32 v9, a31
	v_mul_f32_e32 v4, v9, v3
	v_fmac_f32_e32 v4, v8, v2
	v_mul_f32_e32 v2, v9, v2
	v_fma_f32 v2, v8, v3, -v2
	v_cvt_f64_f32_e32 v[4:5], v4
	v_cvt_f64_f32_e32 v[2:3], v2
	v_mul_f64 v[4:5], v[4:5], s[0:1]
	v_mul_f64 v[2:3], v[2:3], s[0:1]
	v_cvt_f32_f64_e32 v4, v[4:5]
	v_cvt_f32_f64_e32 v5, v[2:3]
	v_accvgpr_read_b32 v2, a28
	v_accvgpr_read_b32 v3, a29
	v_lshl_add_u64 v[8:9], v[0:1], 0, s[8:9]
	v_mul_f32_e32 v0, v3, v7
	v_fmac_f32_e32 v0, v2, v6
	v_cvt_f64_f32_e32 v[0:1], v0
	v_mul_f64 v[0:1], v[0:1], s[0:1]
	global_store_dwordx2 v[8:9], v[4:5], off
	v_cvt_f32_f64_e32 v4, v[0:1]
	v_mul_f32_e32 v0, v3, v6
	v_fma_f32 v0, v2, v7, -v0
	v_cvt_f64_f32_e32 v[6:7], v0
	ds_read2_b64 v[0:3], v87 offset0:80 offset1:132
	v_mul_f64 v[6:7], v[6:7], s[0:1]
	v_cvt_f32_f64_e32 v5, v[6:7]
	v_accvgpr_read_b32 v6, a24
	v_lshl_add_u64 v[8:9], v[8:9], 0, s[10:11]
	v_accvgpr_read_b32 v7, a25
	global_store_dwordx2 v[8:9], v[4:5], off
	s_waitcnt lgkmcnt(0)
	v_mul_f32_e32 v4, v7, v1
	v_fmac_f32_e32 v4, v6, v0
	v_cvt_f64_f32_e32 v[4:5], v4
	v_mul_f32_e32 v0, v7, v0
	v_mul_f64 v[4:5], v[4:5], s[0:1]
	v_fma_f32 v0, v6, v1, -v0
	v_cvt_f32_f64_e32 v10, v[4:5]
	v_cvt_f64_f32_e32 v[0:1], v0
	ds_read2_b64 v[4:7], v86 offset0:114 offset1:166
	v_mul_f64 v[0:1], v[0:1], s[0:1]
	v_cvt_f32_f64_e32 v11, v[0:1]
	v_lshl_add_u64 v[0:1], v[8:9], 0, s[8:9]
	global_store_dwordx2 v[0:1], v[10:11], off
	v_accvgpr_read_b32 v10, a22
	v_accvgpr_read_b32 v11, a23
	s_waitcnt lgkmcnt(0)
	v_mul_f32_e32 v8, v11, v5
	v_fmac_f32_e32 v8, v10, v4
	v_mul_f32_e32 v4, v11, v4
	v_fma_f32 v4, v10, v5, -v4
	v_cvt_f64_f32_e32 v[8:9], v8
	v_cvt_f64_f32_e32 v[4:5], v4
	v_mul_f64 v[8:9], v[8:9], s[0:1]
	v_mul_f64 v[4:5], v[4:5], s[0:1]
	v_cvt_f32_f64_e32 v8, v[8:9]
	v_cvt_f32_f64_e32 v9, v[4:5]
	v_lshl_add_u64 v[0:1], v[0:1], 0, s[10:11]
	global_store_dwordx2 v[0:1], v[8:9], off
	v_accvgpr_read_b32 v8, a20
	v_accvgpr_read_b32 v9, a21
	v_mul_f32_e32 v4, v9, v3
	v_fmac_f32_e32 v4, v8, v2
	v_mul_f32_e32 v2, v9, v2
	v_fma_f32 v2, v8, v3, -v2
	v_cvt_f64_f32_e32 v[4:5], v4
	v_cvt_f64_f32_e32 v[2:3], v2
	v_mul_f64 v[4:5], v[4:5], s[0:1]
	v_mul_f64 v[2:3], v[2:3], s[0:1]
	v_cvt_f32_f64_e32 v4, v[4:5]
	v_cvt_f32_f64_e32 v5, v[2:3]
	v_accvgpr_read_b32 v2, a18
	;; [unrolled: 60-line block ×3, first 2 shown]
	v_accvgpr_read_b32 v3, a11
	v_lshl_add_u64 v[8:9], v[0:1], 0, s[8:9]
	v_mul_f32_e32 v0, v3, v7
	v_fmac_f32_e32 v0, v2, v6
	v_cvt_f64_f32_e32 v[0:1], v0
	v_mul_f64 v[0:1], v[0:1], s[0:1]
	global_store_dwordx2 v[8:9], v[4:5], off
	v_cvt_f32_f64_e32 v4, v[0:1]
	v_mul_f32_e32 v0, v3, v6
	v_fma_f32 v0, v2, v7, -v0
	v_cvt_f64_f32_e32 v[6:7], v0
	ds_read2_b64 v[0:3], v85 offset0:160 offset1:212
	v_mul_f64 v[6:7], v[6:7], s[0:1]
	v_cvt_f32_f64_e32 v5, v[6:7]
	v_accvgpr_read_b32 v6, a8
	v_lshl_add_u64 v[8:9], v[8:9], 0, s[10:11]
	v_accvgpr_read_b32 v7, a9
	global_store_dwordx2 v[8:9], v[4:5], off
	s_waitcnt lgkmcnt(0)
	v_mul_f32_e32 v4, v7, v1
	v_fmac_f32_e32 v4, v6, v0
	v_cvt_f64_f32_e32 v[4:5], v4
	v_mul_f64 v[4:5], v[4:5], s[0:1]
	v_mul_f32_e32 v0, v7, v0
	v_cvt_f32_f64_e32 v10, v[4:5]
	v_fma_f32 v0, v6, v1, -v0
	ds_read2_b64 v[4:7], v84 offset0:194 offset1:246
	v_cvt_f64_f32_e32 v[0:1], v0
	v_mul_f64 v[0:1], v[0:1], s[0:1]
	v_cvt_f32_f64_e32 v11, v[0:1]
	v_lshl_add_u64 v[0:1], v[8:9], 0, s[8:9]
	global_store_dwordx2 v[0:1], v[10:11], off
	v_accvgpr_read_b32 v11, a7
	v_accvgpr_read_b32 v10, a6
	s_waitcnt lgkmcnt(0)
	v_mul_f32_e32 v8, v11, v5
	v_fmac_f32_e32 v8, v10, v4
	v_mul_f32_e32 v4, v11, v4
	v_fma_f32 v4, v10, v5, -v4
	v_cvt_f64_f32_e32 v[8:9], v8
	v_cvt_f64_f32_e32 v[4:5], v4
	v_mul_f64 v[8:9], v[8:9], s[0:1]
	v_mul_f64 v[4:5], v[4:5], s[0:1]
	v_cvt_f32_f64_e32 v8, v[8:9]
	v_cvt_f32_f64_e32 v9, v[4:5]
	v_lshl_add_u64 v[0:1], v[0:1], 0, s[10:11]
	global_store_dwordx2 v[0:1], v[8:9], off
	v_accvgpr_read_b32 v9, a5
	v_accvgpr_read_b32 v8, a4
	v_mul_f32_e32 v4, v9, v3
	v_fmac_f32_e32 v4, v8, v2
	v_mul_f32_e32 v2, v9, v2
	v_fma_f32 v2, v8, v3, -v2
	v_cvt_f64_f32_e32 v[4:5], v4
	v_cvt_f64_f32_e32 v[2:3], v2
	v_mul_f64 v[4:5], v[4:5], s[0:1]
	v_mul_f64 v[2:3], v[2:3], s[0:1]
	v_cvt_f32_f64_e32 v4, v[4:5]
	v_cvt_f32_f64_e32 v5, v[2:3]
	v_lshl_add_u64 v[0:1], v[0:1], 0, s[8:9]
	global_store_dwordx2 v[0:1], v[4:5], off
	v_accvgpr_read_b32 v5, a3
	v_accvgpr_read_b32 v4, a2
	v_mul_f32_e32 v2, v5, v7
	v_fmac_f32_e32 v2, v4, v6
	v_cvt_f64_f32_e32 v[2:3], v2
	v_mul_f64 v[2:3], v[2:3], s[0:1]
	v_cvt_f32_f64_e32 v2, v[2:3]
	v_mul_f32_e32 v3, v5, v6
	v_fma_f32 v3, v4, v7, -v3
	v_cvt_f64_f32_e32 v[4:5], v3
	v_mul_f64 v[4:5], v[4:5], s[0:1]
	v_cvt_f32_f64_e32 v3, v[4:5]
	v_lshl_add_u64 v[0:1], v[0:1], 0, s[10:11]
	global_store_dwordx2 v[0:1], v[2:3], off
	s_and_b64 exec, exec, s[4:5]
	s_cbranch_execz .LBB0_31
; %bb.30:
	v_accvgpr_read_b32 v9, a1
	v_accvgpr_read_b32 v8, a0
	v_add_co_u32_e32 v2, vcc, 0x1000, v8
	s_movk_i32 s4, 0x2000
	s_nop 0
	v_addc_co_u32_e32 v3, vcc, 0, v9, vcc
	global_load_dwordx2 v[2:3], v[2:3], off offset:64
	ds_read_b64 v[4:5], v136 offset:4160
	ds_read_b64 v[6:7], v136 offset:8528
	v_lshl_add_u64 v[0:1], s[6:7], 3, v[0:1]
	v_add_co_u32_e32 v8, vcc, s4, v8
	s_waitcnt vmcnt(0) lgkmcnt(1)
	v_mul_f32_e32 v10, v5, v3
	v_mul_f32_e32 v3, v4, v3
	v_fmac_f32_e32 v10, v4, v2
	v_fma_f32 v4, v2, v5, -v3
	v_cvt_f64_f32_e32 v[2:3], v10
	v_cvt_f64_f32_e32 v[4:5], v4
	v_mul_f64 v[2:3], v[2:3], s[0:1]
	v_mul_f64 v[4:5], v[4:5], s[0:1]
	v_cvt_f32_f64_e32 v2, v[2:3]
	v_cvt_f32_f64_e32 v3, v[4:5]
	v_addc_co_u32_e32 v9, vcc, 0, v9, vcc
	global_store_dwordx2 v[0:1], v[2:3], off
	global_load_dwordx2 v[2:3], v[8:9], off offset:336
	v_lshl_add_u64 v[0:1], s[2:3], 3, v[0:1]
	s_waitcnt vmcnt(0) lgkmcnt(0)
	v_mul_f32_e32 v4, v7, v3
	v_mul_f32_e32 v3, v6, v3
	v_fmac_f32_e32 v4, v6, v2
	v_fma_f32 v5, v2, v7, -v3
	v_cvt_f64_f32_e32 v[2:3], v4
	v_cvt_f64_f32_e32 v[4:5], v5
	v_mul_f64 v[2:3], v[2:3], s[0:1]
	v_mul_f64 v[4:5], v[4:5], s[0:1]
	v_cvt_f32_f64_e32 v2, v[2:3]
	v_cvt_f32_f64_e32 v3, v[4:5]
	global_store_dwordx2 v[0:1], v[2:3], off
.LBB0_31:
	s_endpgm
	.section	.rodata,"a",@progbits
	.p2align	6, 0x0
	.amdhsa_kernel bluestein_single_back_len1092_dim1_sp_op_CI_CI
		.amdhsa_group_segment_fixed_size 8736
		.amdhsa_private_segment_fixed_size 0
		.amdhsa_kernarg_size 104
		.amdhsa_user_sgpr_count 2
		.amdhsa_user_sgpr_dispatch_ptr 0
		.amdhsa_user_sgpr_queue_ptr 0
		.amdhsa_user_sgpr_kernarg_segment_ptr 1
		.amdhsa_user_sgpr_dispatch_id 0
		.amdhsa_user_sgpr_kernarg_preload_length 0
		.amdhsa_user_sgpr_kernarg_preload_offset 0
		.amdhsa_user_sgpr_private_segment_size 0
		.amdhsa_uses_dynamic_stack 0
		.amdhsa_enable_private_segment 0
		.amdhsa_system_sgpr_workgroup_id_x 1
		.amdhsa_system_sgpr_workgroup_id_y 0
		.amdhsa_system_sgpr_workgroup_id_z 0
		.amdhsa_system_sgpr_workgroup_info 0
		.amdhsa_system_vgpr_workitem_id 0
		.amdhsa_next_free_vgpr 410
		.amdhsa_next_free_sgpr 58
		.amdhsa_accum_offset 256
		.amdhsa_reserve_vcc 1
		.amdhsa_float_round_mode_32 0
		.amdhsa_float_round_mode_16_64 0
		.amdhsa_float_denorm_mode_32 3
		.amdhsa_float_denorm_mode_16_64 3
		.amdhsa_dx10_clamp 1
		.amdhsa_ieee_mode 1
		.amdhsa_fp16_overflow 0
		.amdhsa_tg_split 0
		.amdhsa_exception_fp_ieee_invalid_op 0
		.amdhsa_exception_fp_denorm_src 0
		.amdhsa_exception_fp_ieee_div_zero 0
		.amdhsa_exception_fp_ieee_overflow 0
		.amdhsa_exception_fp_ieee_underflow 0
		.amdhsa_exception_fp_ieee_inexact 0
		.amdhsa_exception_int_div_zero 0
	.end_amdhsa_kernel
	.text
.Lfunc_end0:
	.size	bluestein_single_back_len1092_dim1_sp_op_CI_CI, .Lfunc_end0-bluestein_single_back_len1092_dim1_sp_op_CI_CI
                                        ; -- End function
	.section	.AMDGPU.csdata,"",@progbits
; Kernel info:
; codeLenInByte = 28784
; NumSgprs: 64
; NumVgprs: 256
; NumAgprs: 154
; TotalNumVgprs: 410
; ScratchSize: 0
; MemoryBound: 0
; FloatMode: 240
; IeeeMode: 1
; LDSByteSize: 8736 bytes/workgroup (compile time only)
; SGPRBlocks: 7
; VGPRBlocks: 51
; NumSGPRsForWavesPerEU: 64
; NumVGPRsForWavesPerEU: 410
; AccumOffset: 256
; Occupancy: 1
; WaveLimiterHint : 1
; COMPUTE_PGM_RSRC2:SCRATCH_EN: 0
; COMPUTE_PGM_RSRC2:USER_SGPR: 2
; COMPUTE_PGM_RSRC2:TRAP_HANDLER: 0
; COMPUTE_PGM_RSRC2:TGID_X_EN: 1
; COMPUTE_PGM_RSRC2:TGID_Y_EN: 0
; COMPUTE_PGM_RSRC2:TGID_Z_EN: 0
; COMPUTE_PGM_RSRC2:TIDIG_COMP_CNT: 0
; COMPUTE_PGM_RSRC3_GFX90A:ACCUM_OFFSET: 63
; COMPUTE_PGM_RSRC3_GFX90A:TG_SPLIT: 0
	.text
	.p2alignl 6, 3212836864
	.fill 256, 4, 3212836864
	.type	__hip_cuid_28b666c7c45c711c,@object ; @__hip_cuid_28b666c7c45c711c
	.section	.bss,"aw",@nobits
	.globl	__hip_cuid_28b666c7c45c711c
__hip_cuid_28b666c7c45c711c:
	.byte	0                               ; 0x0
	.size	__hip_cuid_28b666c7c45c711c, 1

	.ident	"AMD clang version 19.0.0git (https://github.com/RadeonOpenCompute/llvm-project roc-6.4.0 25133 c7fe45cf4b819c5991fe208aaa96edf142730f1d)"
	.section	".note.GNU-stack","",@progbits
	.addrsig
	.addrsig_sym __hip_cuid_28b666c7c45c711c
	.amdgpu_metadata
---
amdhsa.kernels:
  - .agpr_count:     154
    .args:
      - .actual_access:  read_only
        .address_space:  global
        .offset:         0
        .size:           8
        .value_kind:     global_buffer
      - .actual_access:  read_only
        .address_space:  global
        .offset:         8
        .size:           8
        .value_kind:     global_buffer
      - .actual_access:  read_only
        .address_space:  global
        .offset:         16
        .size:           8
        .value_kind:     global_buffer
      - .actual_access:  read_only
        .address_space:  global
        .offset:         24
        .size:           8
        .value_kind:     global_buffer
      - .actual_access:  read_only
        .address_space:  global
        .offset:         32
        .size:           8
        .value_kind:     global_buffer
      - .offset:         40
        .size:           8
        .value_kind:     by_value
      - .address_space:  global
        .offset:         48
        .size:           8
        .value_kind:     global_buffer
      - .address_space:  global
        .offset:         56
        .size:           8
        .value_kind:     global_buffer
      - .address_space:  global
        .offset:         64
        .size:           8
        .value_kind:     global_buffer
      - .address_space:  global
        .offset:         72
        .size:           8
        .value_kind:     global_buffer
      - .offset:         80
        .size:           4
        .value_kind:     by_value
      - .address_space:  global
        .offset:         88
        .size:           8
        .value_kind:     global_buffer
      - .address_space:  global
        .offset:         96
        .size:           8
        .value_kind:     global_buffer
    .group_segment_fixed_size: 8736
    .kernarg_segment_align: 8
    .kernarg_segment_size: 104
    .language:       OpenCL C
    .language_version:
      - 2
      - 0
    .max_flat_workgroup_size: 52
    .name:           bluestein_single_back_len1092_dim1_sp_op_CI_CI
    .private_segment_fixed_size: 0
    .sgpr_count:     64
    .sgpr_spill_count: 0
    .symbol:         bluestein_single_back_len1092_dim1_sp_op_CI_CI.kd
    .uniform_work_group_size: 1
    .uses_dynamic_stack: false
    .vgpr_count:     410
    .vgpr_spill_count: 0
    .wavefront_size: 64
amdhsa.target:   amdgcn-amd-amdhsa--gfx950
amdhsa.version:
  - 1
  - 2
...

	.end_amdgpu_metadata
